;; amdgpu-corpus repo=ROCm/rocFFT kind=compiled arch=gfx1100 opt=O3
	.text
	.amdgcn_target "amdgcn-amd-amdhsa--gfx1100"
	.amdhsa_code_object_version 6
	.protected	fft_rtc_back_len2401_factors_7_7_7_7_wgs_49_tpt_49_halfLds_sp_op_CI_CI_unitstride_sbrr_dirReg ; -- Begin function fft_rtc_back_len2401_factors_7_7_7_7_wgs_49_tpt_49_halfLds_sp_op_CI_CI_unitstride_sbrr_dirReg
	.globl	fft_rtc_back_len2401_factors_7_7_7_7_wgs_49_tpt_49_halfLds_sp_op_CI_CI_unitstride_sbrr_dirReg
	.p2align	8
	.type	fft_rtc_back_len2401_factors_7_7_7_7_wgs_49_tpt_49_halfLds_sp_op_CI_CI_unitstride_sbrr_dirReg,@function
fft_rtc_back_len2401_factors_7_7_7_7_wgs_49_tpt_49_halfLds_sp_op_CI_CI_unitstride_sbrr_dirReg: ; @fft_rtc_back_len2401_factors_7_7_7_7_wgs_49_tpt_49_halfLds_sp_op_CI_CI_unitstride_sbrr_dirReg
; %bb.0:
	s_clause 0x2
	s_load_b128 s[8:11], s[0:1], 0x0
	s_load_b128 s[4:7], s[0:1], 0x58
	;; [unrolled: 1-line block ×3, first 2 shown]
	v_mul_u32_u24_e32 v1, 0x53a, v0
	v_mov_b32_e32 v71, 0
	v_mov_b32_e32 v72, 0
	s_delay_alu instid0(VALU_DEP_3) | instskip(SKIP_1) | instid1(VALU_DEP_1)
	v_lshrrev_b32_e32 v2, 16, v1
	v_mov_b32_e32 v1, 0
	v_dual_mov_b32 v4, v1 :: v_dual_add_nc_u32 v3, s15, v2
	s_waitcnt lgkmcnt(0)
	v_cmp_lt_u64_e64 s2, s[10:11], 2
	s_delay_alu instid0(VALU_DEP_1)
	s_and_b32 vcc_lo, exec_lo, s2
	s_cbranch_vccnz .LBB0_8
; %bb.1:
	s_load_b64 s[2:3], s[0:1], 0x10
	v_mov_b32_e32 v71, 0
	v_mov_b32_e32 v72, 0
	s_add_u32 s12, s18, 8
	s_addc_u32 s13, s19, 0
	s_add_u32 s14, s16, 8
	s_delay_alu instid0(VALU_DEP_1)
	v_dual_mov_b32 v52, v71 :: v_dual_mov_b32 v53, v72
	s_addc_u32 s15, s17, 0
	s_mov_b64 s[22:23], 1
	s_waitcnt lgkmcnt(0)
	s_add_u32 s20, s2, 8
	s_addc_u32 s21, s3, 0
.LBB0_2:                                ; =>This Inner Loop Header: Depth=1
	s_load_b64 s[24:25], s[20:21], 0x0
                                        ; implicit-def: $vgpr24_vgpr25
	s_mov_b32 s2, exec_lo
	s_waitcnt lgkmcnt(0)
	v_or_b32_e32 v2, s25, v4
	s_delay_alu instid0(VALU_DEP_1)
	v_cmpx_ne_u64_e32 0, v[1:2]
	s_xor_b32 s3, exec_lo, s2
	s_cbranch_execz .LBB0_4
; %bb.3:                                ;   in Loop: Header=BB0_2 Depth=1
	v_cvt_f32_u32_e32 v2, s24
	v_cvt_f32_u32_e32 v5, s25
	s_sub_u32 s2, 0, s24
	s_subb_u32 s26, 0, s25
	s_delay_alu instid0(VALU_DEP_1) | instskip(NEXT) | instid1(VALU_DEP_1)
	v_fmac_f32_e32 v2, 0x4f800000, v5
	v_rcp_f32_e32 v2, v2
	s_waitcnt_depctr 0xfff
	v_mul_f32_e32 v2, 0x5f7ffffc, v2
	s_delay_alu instid0(VALU_DEP_1) | instskip(NEXT) | instid1(VALU_DEP_1)
	v_mul_f32_e32 v5, 0x2f800000, v2
	v_trunc_f32_e32 v5, v5
	s_delay_alu instid0(VALU_DEP_1) | instskip(SKIP_1) | instid1(VALU_DEP_2)
	v_fmac_f32_e32 v2, 0xcf800000, v5
	v_cvt_u32_f32_e32 v5, v5
	v_cvt_u32_f32_e32 v2, v2
	s_delay_alu instid0(VALU_DEP_2) | instskip(NEXT) | instid1(VALU_DEP_2)
	v_mul_lo_u32 v6, s2, v5
	v_mul_hi_u32 v7, s2, v2
	v_mul_lo_u32 v8, s26, v2
	s_delay_alu instid0(VALU_DEP_2) | instskip(SKIP_1) | instid1(VALU_DEP_2)
	v_add_nc_u32_e32 v6, v7, v6
	v_mul_lo_u32 v7, s2, v2
	v_add_nc_u32_e32 v6, v6, v8
	s_delay_alu instid0(VALU_DEP_2) | instskip(NEXT) | instid1(VALU_DEP_2)
	v_mul_hi_u32 v8, v2, v7
	v_mul_lo_u32 v9, v2, v6
	v_mul_hi_u32 v10, v2, v6
	v_mul_hi_u32 v11, v5, v7
	v_mul_lo_u32 v7, v5, v7
	v_mul_hi_u32 v12, v5, v6
	v_mul_lo_u32 v6, v5, v6
	v_add_co_u32 v8, vcc_lo, v8, v9
	v_add_co_ci_u32_e32 v9, vcc_lo, 0, v10, vcc_lo
	s_delay_alu instid0(VALU_DEP_2) | instskip(NEXT) | instid1(VALU_DEP_2)
	v_add_co_u32 v7, vcc_lo, v8, v7
	v_add_co_ci_u32_e32 v7, vcc_lo, v9, v11, vcc_lo
	v_add_co_ci_u32_e32 v8, vcc_lo, 0, v12, vcc_lo
	s_delay_alu instid0(VALU_DEP_2) | instskip(NEXT) | instid1(VALU_DEP_2)
	v_add_co_u32 v6, vcc_lo, v7, v6
	v_add_co_ci_u32_e32 v7, vcc_lo, 0, v8, vcc_lo
	s_delay_alu instid0(VALU_DEP_2) | instskip(NEXT) | instid1(VALU_DEP_2)
	v_add_co_u32 v2, vcc_lo, v2, v6
	v_add_co_ci_u32_e32 v5, vcc_lo, v5, v7, vcc_lo
	s_delay_alu instid0(VALU_DEP_2) | instskip(SKIP_1) | instid1(VALU_DEP_3)
	v_mul_hi_u32 v6, s2, v2
	v_mul_lo_u32 v8, s26, v2
	v_mul_lo_u32 v7, s2, v5
	s_delay_alu instid0(VALU_DEP_1) | instskip(SKIP_1) | instid1(VALU_DEP_2)
	v_add_nc_u32_e32 v6, v6, v7
	v_mul_lo_u32 v7, s2, v2
	v_add_nc_u32_e32 v6, v6, v8
	s_delay_alu instid0(VALU_DEP_2) | instskip(NEXT) | instid1(VALU_DEP_2)
	v_mul_hi_u32 v8, v2, v7
	v_mul_lo_u32 v9, v2, v6
	v_mul_hi_u32 v10, v2, v6
	v_mul_hi_u32 v11, v5, v7
	v_mul_lo_u32 v7, v5, v7
	v_mul_hi_u32 v12, v5, v6
	v_mul_lo_u32 v6, v5, v6
	v_add_co_u32 v8, vcc_lo, v8, v9
	v_add_co_ci_u32_e32 v9, vcc_lo, 0, v10, vcc_lo
	s_delay_alu instid0(VALU_DEP_2) | instskip(NEXT) | instid1(VALU_DEP_2)
	v_add_co_u32 v7, vcc_lo, v8, v7
	v_add_co_ci_u32_e32 v7, vcc_lo, v9, v11, vcc_lo
	v_add_co_ci_u32_e32 v8, vcc_lo, 0, v12, vcc_lo
	s_delay_alu instid0(VALU_DEP_2) | instskip(NEXT) | instid1(VALU_DEP_2)
	v_add_co_u32 v6, vcc_lo, v7, v6
	v_add_co_ci_u32_e32 v7, vcc_lo, 0, v8, vcc_lo
	s_delay_alu instid0(VALU_DEP_2) | instskip(NEXT) | instid1(VALU_DEP_2)
	v_add_co_u32 v2, vcc_lo, v2, v6
	v_add_co_ci_u32_e32 v11, vcc_lo, v5, v7, vcc_lo
	s_delay_alu instid0(VALU_DEP_2) | instskip(SKIP_1) | instid1(VALU_DEP_3)
	v_mul_hi_u32 v12, v3, v2
	v_mad_u64_u32 v[7:8], null, v4, v2, 0
	v_mad_u64_u32 v[5:6], null, v3, v11, 0
	;; [unrolled: 1-line block ×3, first 2 shown]
	s_delay_alu instid0(VALU_DEP_2) | instskip(NEXT) | instid1(VALU_DEP_3)
	v_add_co_u32 v2, vcc_lo, v12, v5
	v_add_co_ci_u32_e32 v5, vcc_lo, 0, v6, vcc_lo
	s_delay_alu instid0(VALU_DEP_2) | instskip(NEXT) | instid1(VALU_DEP_2)
	v_add_co_u32 v2, vcc_lo, v2, v7
	v_add_co_ci_u32_e32 v2, vcc_lo, v5, v8, vcc_lo
	v_add_co_ci_u32_e32 v5, vcc_lo, 0, v10, vcc_lo
	s_delay_alu instid0(VALU_DEP_2) | instskip(NEXT) | instid1(VALU_DEP_2)
	v_add_co_u32 v2, vcc_lo, v2, v9
	v_add_co_ci_u32_e32 v7, vcc_lo, 0, v5, vcc_lo
	s_delay_alu instid0(VALU_DEP_2) | instskip(SKIP_1) | instid1(VALU_DEP_3)
	v_mul_lo_u32 v8, s25, v2
	v_mad_u64_u32 v[5:6], null, s24, v2, 0
	v_mul_lo_u32 v9, s24, v7
	s_delay_alu instid0(VALU_DEP_2) | instskip(NEXT) | instid1(VALU_DEP_2)
	v_sub_co_u32 v5, vcc_lo, v3, v5
	v_add3_u32 v6, v6, v9, v8
	s_delay_alu instid0(VALU_DEP_1) | instskip(NEXT) | instid1(VALU_DEP_1)
	v_sub_nc_u32_e32 v8, v4, v6
	v_subrev_co_ci_u32_e64 v8, s2, s25, v8, vcc_lo
	v_add_co_u32 v9, s2, v2, 2
	s_delay_alu instid0(VALU_DEP_1) | instskip(SKIP_3) | instid1(VALU_DEP_3)
	v_add_co_ci_u32_e64 v10, s2, 0, v7, s2
	v_sub_co_u32 v11, s2, v5, s24
	v_sub_co_ci_u32_e32 v6, vcc_lo, v4, v6, vcc_lo
	v_subrev_co_ci_u32_e64 v8, s2, 0, v8, s2
	v_cmp_le_u32_e32 vcc_lo, s24, v11
	s_delay_alu instid0(VALU_DEP_3) | instskip(SKIP_1) | instid1(VALU_DEP_4)
	v_cmp_eq_u32_e64 s2, s25, v6
	v_cndmask_b32_e64 v11, 0, -1, vcc_lo
	v_cmp_le_u32_e32 vcc_lo, s25, v8
	v_cndmask_b32_e64 v12, 0, -1, vcc_lo
	v_cmp_le_u32_e32 vcc_lo, s24, v5
	;; [unrolled: 2-line block ×3, first 2 shown]
	v_cndmask_b32_e64 v13, 0, -1, vcc_lo
	v_cmp_eq_u32_e32 vcc_lo, s25, v8
	s_delay_alu instid0(VALU_DEP_2) | instskip(SKIP_3) | instid1(VALU_DEP_3)
	v_cndmask_b32_e64 v5, v13, v5, s2
	v_cndmask_b32_e32 v8, v12, v11, vcc_lo
	v_add_co_u32 v11, vcc_lo, v2, 1
	v_add_co_ci_u32_e32 v12, vcc_lo, 0, v7, vcc_lo
	v_cmp_ne_u32_e32 vcc_lo, 0, v8
	s_delay_alu instid0(VALU_DEP_2) | instskip(NEXT) | instid1(VALU_DEP_4)
	v_cndmask_b32_e32 v6, v12, v10, vcc_lo
	v_cndmask_b32_e32 v8, v11, v9, vcc_lo
	v_cmp_ne_u32_e32 vcc_lo, 0, v5
	s_delay_alu instid0(VALU_DEP_2)
	v_dual_cndmask_b32 v25, v7, v6 :: v_dual_cndmask_b32 v24, v2, v8
.LBB0_4:                                ;   in Loop: Header=BB0_2 Depth=1
	s_and_not1_saveexec_b32 s2, s3
	s_cbranch_execz .LBB0_6
; %bb.5:                                ;   in Loop: Header=BB0_2 Depth=1
	v_cvt_f32_u32_e32 v2, s24
	s_sub_i32 s3, 0, s24
	v_mov_b32_e32 v25, v1
	s_delay_alu instid0(VALU_DEP_2) | instskip(SKIP_2) | instid1(VALU_DEP_1)
	v_rcp_iflag_f32_e32 v2, v2
	s_waitcnt_depctr 0xfff
	v_mul_f32_e32 v2, 0x4f7ffffe, v2
	v_cvt_u32_f32_e32 v2, v2
	s_delay_alu instid0(VALU_DEP_1) | instskip(NEXT) | instid1(VALU_DEP_1)
	v_mul_lo_u32 v5, s3, v2
	v_mul_hi_u32 v5, v2, v5
	s_delay_alu instid0(VALU_DEP_1) | instskip(NEXT) | instid1(VALU_DEP_1)
	v_add_nc_u32_e32 v2, v2, v5
	v_mul_hi_u32 v2, v3, v2
	s_delay_alu instid0(VALU_DEP_1) | instskip(SKIP_1) | instid1(VALU_DEP_2)
	v_mul_lo_u32 v5, v2, s24
	v_add_nc_u32_e32 v6, 1, v2
	v_sub_nc_u32_e32 v5, v3, v5
	s_delay_alu instid0(VALU_DEP_1) | instskip(SKIP_1) | instid1(VALU_DEP_2)
	v_subrev_nc_u32_e32 v7, s24, v5
	v_cmp_le_u32_e32 vcc_lo, s24, v5
	v_dual_cndmask_b32 v5, v5, v7 :: v_dual_cndmask_b32 v2, v2, v6
	s_delay_alu instid0(VALU_DEP_1) | instskip(NEXT) | instid1(VALU_DEP_2)
	v_cmp_le_u32_e32 vcc_lo, s24, v5
	v_add_nc_u32_e32 v6, 1, v2
	s_delay_alu instid0(VALU_DEP_1)
	v_cndmask_b32_e32 v24, v2, v6, vcc_lo
.LBB0_6:                                ;   in Loop: Header=BB0_2 Depth=1
	s_or_b32 exec_lo, exec_lo, s2
	s_delay_alu instid0(VALU_DEP_1) | instskip(NEXT) | instid1(VALU_DEP_2)
	v_mul_lo_u32 v2, v25, s24
	v_mul_lo_u32 v7, v24, s25
	s_load_b64 s[2:3], s[14:15], 0x0
	v_mad_u64_u32 v[5:6], null, v24, s24, 0
	s_load_b64 s[24:25], s[12:13], 0x0
	s_add_u32 s22, s22, 1
	s_addc_u32 s23, s23, 0
	s_add_u32 s12, s12, 8
	s_addc_u32 s13, s13, 0
	s_add_u32 s14, s14, 8
	s_delay_alu instid0(VALU_DEP_1) | instskip(SKIP_3) | instid1(VALU_DEP_2)
	v_add3_u32 v2, v6, v7, v2
	v_sub_co_u32 v6, vcc_lo, v3, v5
	s_addc_u32 s15, s15, 0
	s_add_u32 s20, s20, 8
	v_sub_co_ci_u32_e32 v4, vcc_lo, v4, v2, vcc_lo
	s_addc_u32 s21, s21, 0
	s_waitcnt lgkmcnt(0)
	s_delay_alu instid0(VALU_DEP_1)
	v_mul_lo_u32 v7, s2, v4
	v_mul_lo_u32 v8, s3, v6
	v_mad_u64_u32 v[2:3], null, s2, v6, v[71:72]
	v_mul_lo_u32 v9, s24, v4
	v_mul_lo_u32 v10, s25, v6
	v_mad_u64_u32 v[4:5], null, s24, v6, v[52:53]
	v_cmp_ge_u64_e64 s2, s[22:23], s[10:11]
	v_add3_u32 v72, v8, v3, v7
	s_delay_alu instid0(VALU_DEP_3) | instskip(NEXT) | instid1(VALU_DEP_4)
	v_dual_mov_b32 v71, v2 :: v_dual_mov_b32 v52, v4
	v_add3_u32 v53, v10, v5, v9
	s_delay_alu instid0(VALU_DEP_4)
	s_and_b32 vcc_lo, exec_lo, s2
	s_cbranch_vccnz .LBB0_9
; %bb.7:                                ;   in Loop: Header=BB0_2 Depth=1
	v_dual_mov_b32 v3, v24 :: v_dual_mov_b32 v4, v25
	s_branch .LBB0_2
.LBB0_8:
	v_dual_mov_b32 v52, v71 :: v_dual_mov_b32 v53, v72
	v_dual_mov_b32 v25, v4 :: v_dual_mov_b32 v24, v3
.LBB0_9:
	s_load_b64 s[0:1], s[0:1], 0x28
	v_mul_hi_u32 v9, 0x539782a, v0
	s_lshl_b64 s[10:11], s[10:11], 3
                                        ; implicit-def: $sgpr12_sgpr13
                                        ; implicit-def: $vgpr140
	s_delay_alu instid0(SALU_CYCLE_1) | instskip(SKIP_4) | instid1(VALU_DEP_1)
	s_add_u32 s2, s18, s10
	s_addc_u32 s3, s19, s11
	s_waitcnt lgkmcnt(0)
	v_cmp_gt_u64_e32 vcc_lo, s[0:1], v[24:25]
	v_cmp_le_u64_e64 s0, s[0:1], v[24:25]
	s_and_saveexec_b32 s1, s0
	s_delay_alu instid0(SALU_CYCLE_1)
	s_xor_b32 s0, exec_lo, s1
; %bb.10:
	v_mul_u32_u24_e32 v1, 49, v9
	s_mov_b64 s[12:13], 0
                                        ; implicit-def: $vgpr9
                                        ; implicit-def: $vgpr71_vgpr72
	s_delay_alu instid0(VALU_DEP_1)
	v_sub_nc_u32_e32 v140, v0, v1
                                        ; implicit-def: $vgpr0
; %bb.11:
	s_or_saveexec_b32 s1, s0
	v_dual_mov_b32 v97, s13 :: v_dual_mov_b32 v96, s12
	v_dual_mov_b32 v103, s13 :: v_dual_mov_b32 v102, s12
	v_dual_mov_b32 v89, s13 :: v_dual_mov_b32 v88, s12
	v_dual_mov_b32 v38, s13 :: v_dual_mov_b32 v37, s12
	v_dual_mov_b32 v87, s13 :: v_dual_mov_b32 v86, s12
	v_dual_mov_b32 v91, s13 :: v_dual_mov_b32 v90, s12
	v_dual_mov_b32 v85, s13 :: v_dual_mov_b32 v84, s12
	v_dual_mov_b32 v75, s13 :: v_dual_mov_b32 v74, s12
	v_dual_mov_b32 v77, s13 :: v_dual_mov_b32 v76, s12
	v_dual_mov_b32 v79, s13 :: v_dual_mov_b32 v78, s12
	v_dual_mov_b32 v66, s13 :: v_dual_mov_b32 v65, s12
	v_dual_mov_b32 v62, s13 :: v_dual_mov_b32 v61, s12
	v_dual_mov_b32 v59, s13 :: v_dual_mov_b32 v58, s12
	v_dual_mov_b32 v64, s13 :: v_dual_mov_b32 v63, s12
	v_dual_mov_b32 v46, s13 :: v_dual_mov_b32 v45, s12
	v_dual_mov_b32 v51, s13 :: v_dual_mov_b32 v50, s12
	v_dual_mov_b32 v42, s13 :: v_dual_mov_b32 v41, s12
	v_dual_mov_b32 v44, s13 :: v_dual_mov_b32 v43, s12
	v_dual_mov_b32 v31, s13 :: v_dual_mov_b32 v30, s12
	v_dual_mov_b32 v5, s12 :: v_dual_mov_b32 v6, s13
	v_dual_mov_b32 v29, s13 :: v_dual_mov_b32 v28, s12
	v_dual_mov_b32 v27, s13 :: v_dual_mov_b32 v26, s12
	v_dual_mov_b32 v16, s13 :: v_dual_mov_b32 v15, s12
	v_dual_mov_b32 v3, s12 :: v_dual_mov_b32 v4, s13
	v_dual_mov_b32 v11, s12 :: v_dual_mov_b32 v12, s13
	v_dual_mov_b32 v14, s13 :: v_dual_mov_b32 v13, s12
	v_dual_mov_b32 v7, s12 :: v_dual_mov_b32 v8, s13
	v_dual_mov_b32 v1, s12 :: v_dual_mov_b32 v2, s13
                                        ; implicit-def: $vgpr20
                                        ; implicit-def: $vgpr18
                                        ; implicit-def: $vgpr10
                                        ; implicit-def: $vgpr35
                                        ; implicit-def: $vgpr33
                                        ; implicit-def: $vgpr22
                                        ; implicit-def: $vgpr55
                                        ; implicit-def: $vgpr48
                                        ; implicit-def: $vgpr40
                                        ; implicit-def: $vgpr73
                                        ; implicit-def: $vgpr68
                                        ; implicit-def: $vgpr57
                                        ; implicit-def: $vgpr83
                                        ; implicit-def: $vgpr81
                                        ; implicit-def: $vgpr70
                                        ; implicit-def: $vgpr99
                                        ; implicit-def: $vgpr93
                                        ; implicit-def: $vgpr95
                                        ; implicit-def: $vgpr107
                                        ; implicit-def: $vgpr105
                                        ; implicit-def: $vgpr101
	s_xor_b32 exec_lo, exec_lo, s1
	s_cbranch_execz .LBB0_13
; %bb.12:
	s_add_u32 s10, s16, s10
	s_addc_u32 s11, s17, s11
	v_mul_u32_u24_e32 v5, 49, v9
	s_load_b64 s[10:11], s[10:11], 0x0
	s_delay_alu instid0(VALU_DEP_1) | instskip(SKIP_4) | instid1(VALU_DEP_1)
	v_sub_nc_u32_e32 v140, v0, v5
	s_waitcnt lgkmcnt(0)
	v_mul_lo_u32 v3, s11, v24
	v_mul_lo_u32 v4, s10, v25
	v_mad_u64_u32 v[1:2], null, s10, v24, 0
	v_add3_u32 v2, v2, v4, v3
	v_lshlrev_b64 v[3:4], 3, v[71:72]
	s_delay_alu instid0(VALU_DEP_2) | instskip(NEXT) | instid1(VALU_DEP_1)
	v_lshlrev_b64 v[1:2], 3, v[1:2]
	v_add_co_u32 v0, s0, s4, v1
	s_delay_alu instid0(VALU_DEP_1) | instskip(SKIP_1) | instid1(VALU_DEP_3)
	v_add_co_ci_u32_e64 v1, s0, s5, v2, s0
	v_lshlrev_b32_e32 v2, 3, v140
	v_add_co_u32 v0, s0, v0, v3
	s_delay_alu instid0(VALU_DEP_1) | instskip(NEXT) | instid1(VALU_DEP_2)
	v_add_co_ci_u32_e64 v1, s0, v1, v4, s0
	v_add_co_u32 v0, s0, v0, v2
	s_delay_alu instid0(VALU_DEP_1) | instskip(NEXT) | instid1(VALU_DEP_2)
	v_add_co_ci_u32_e64 v1, s0, 0, v1, s0
	v_add_co_u32 v7, s0, 0x1000, v0
	s_delay_alu instid0(VALU_DEP_1) | instskip(SKIP_1) | instid1(VALU_DEP_1)
	v_add_co_ci_u32_e64 v8, s0, 0, v1, s0
	v_add_co_u32 v9, s0, 0x2000, v0
	v_add_co_ci_u32_e64 v10, s0, 0, v1, s0
	v_add_co_u32 v17, s0, 0x3000, v0
	s_delay_alu instid0(VALU_DEP_1) | instskip(SKIP_1) | instid1(VALU_DEP_1)
	v_add_co_ci_u32_e64 v18, s0, 0, v1, s0
	v_add_co_u32 v19, s0, 0x4000, v0
	v_add_co_ci_u32_e64 v20, s0, 0, v1, s0
	s_clause 0x1f
	global_load_b64 v[37:38], v[0:1], off
	global_load_b64 v[74:75], v[0:1], off offset:392
	global_load_b64 v[61:62], v[0:1], off offset:784
	;; [unrolled: 1-line block ×31, first 2 shown]
	s_clause 0x10
	global_load_b64 v[100:101], v[9:10], off offset:40
	global_load_b64 v[13:14], v[7:8], off offset:3744
	;; [unrolled: 1-line block ×17, first 2 shown]
.LBB0_13:
	s_or_b32 exec_lo, exec_lo, s1
	s_waitcnt vmcnt(5)
	v_dual_add_f32 v23, v106, v96 :: v_dual_add_f32 v108, v107, v97
	v_dual_sub_f32 v36, v97, v107 :: v_dual_add_f32 v49, v104, v102
	v_dual_sub_f32 v0, v96, v106 :: v_dual_add_f32 v97, v105, v103
	v_dual_sub_f32 v96, v102, v104 :: v_dual_sub_f32 v71, v103, v105
	s_delay_alu instid0(VALU_DEP_3)
	v_dual_add_f32 v60, v100, v88 :: v_dual_add_f32 v103, v23, v49
	v_sub_f32_e32 v102, v89, v101
	v_sub_f32_e32 v104, v49, v23
	s_waitcnt vmcnt(0)
	v_sub_f32_e32 v113, v11, v19
	v_sub_f32_e32 v105, v23, v60
	;; [unrolled: 1-line block ×3, first 2 shown]
	v_add_f32_e32 v23, v71, v102
	v_dual_add_f32 v60, v103, v60 :: v_dual_sub_f32 v103, v102, v71
	v_dual_sub_f32 v102, v36, v102 :: v_dual_sub_f32 v71, v71, v36
	v_dual_sub_f32 v88, v88, v100 :: v_dual_add_f32 v89, v101, v89
	s_delay_alu instid0(VALU_DEP_3) | instskip(NEXT) | instid1(VALU_DEP_3)
	v_mul_f32_e32 v103, 0x3f08b237, v103
	v_dual_add_f32 v101, v98, v86 :: v_dual_mul_f32 v106, 0xbf5ff5aa, v71
	v_add_f32_e32 v36, v36, v23
	v_add_f32_e32 v23, v60, v37
	v_mul_f32_e32 v37, 0x3d64c772, v49
	v_dual_mul_f32 v49, 0x3f4a47b2, v105 :: v_dual_sub_f32 v86, v86, v98
	v_add_f32_e32 v98, v92, v90
	v_add_f32_e32 v119, v18, v14
	s_delay_alu instid0(VALU_DEP_4)
	v_fmamk_f32 v105, v105, 0x3f4a47b2, v37
	v_fma_f32 v37, 0x3f3bfb3b, v104, -v37
	v_fma_f32 v49, 0xbf3bfb3b, v104, -v49
	v_fmamk_f32 v104, v102, 0xbeae86e6, v103
	v_fmamk_f32 v60, v60, 0xbf955555, v23
	v_fma_f32 v102, 0x3eae86e6, v102, -v106
	v_dual_sub_f32 v90, v90, v92 :: v_dual_sub_f32 v117, v13, v17
	v_add_f32_e32 v92, v94, v84
	s_delay_alu instid0(VALU_DEP_4) | instskip(SKIP_4) | instid1(VALU_DEP_3)
	v_add_f32_e32 v106, v49, v60
	v_fma_f32 v71, 0xbf5ff5aa, v71, -v103
	v_add_f32_e32 v103, v105, v60
	v_dual_add_f32 v105, v37, v60 :: v_dual_sub_f32 v84, v84, v94
	s_load_b64 s[0:1], s[2:3], 0x0
	v_fmac_f32_e32 v71, 0xbee1c552, v36
	v_fmac_f32_e32 v102, 0xbee1c552, v36
	v_lshl_add_u32 v141, v140, 2, 0
	v_sub_f32_e32 v110, v86, v84
	v_add_f32_e32 v112, v57, v46
	v_dual_sub_f32 v49, v105, v71 :: v_dual_fmac_f32 v104, 0xbee1c552, v36
	v_dual_add_f32 v37, v106, v102 :: v_dual_add_f32 v60, v105, v71
	v_dual_sub_f32 v71, v106, v102 :: v_dual_add_f32 v102, v99, v87
	s_delay_alu instid0(VALU_DEP_3)
	v_sub_f32_e32 v100, v103, v104
	v_sub_f32_e32 v87, v87, v99
	v_add_f32_e32 v99, v93, v91
	v_sub_f32_e32 v91, v91, v93
	v_add_f32_e32 v93, v95, v85
	v_dual_sub_f32 v85, v85, v95 :: v_dual_add_f32 v36, v103, v104
	s_delay_alu instid0(VALU_DEP_4) | instskip(NEXT) | instid1(VALU_DEP_3)
	v_dual_sub_f32 v104, v99, v102 :: v_dual_add_f32 v95, v102, v99
	v_sub_f32_e32 v102, v102, v93
	s_delay_alu instid0(VALU_DEP_3)
	v_add_f32_e32 v106, v91, v85
	v_dual_add_f32 v94, v101, v98 :: v_dual_sub_f32 v103, v98, v101
	v_dual_sub_f32 v98, v92, v98 :: v_dual_sub_f32 v101, v101, v92
	v_add_f32_e32 v105, v90, v84
	v_sub_f32_e32 v107, v84, v90
	v_sub_f32_e32 v109, v85, v91
	;; [unrolled: 1-line block ×4, first 2 shown]
	v_dual_add_f32 v90, v94, v92 :: v_dual_sub_f32 v99, v93, v99
	v_add_f32_e32 v92, v95, v93
	v_sub_f32_e32 v91, v91, v87
	v_dual_add_f32 v93, v86, v105 :: v_dual_add_f32 v94, v87, v106
	s_delay_alu instid0(VALU_DEP_4)
	v_add_f32_e32 v105, v90, v74
	v_mul_f32_e32 v86, 0x3d64c772, v98
	v_mul_f32_e32 v98, 0x3f08b237, v109
	v_add_f32_e32 v84, v92, v75
	v_mul_f32_e32 v106, 0xbf5ff5aa, v91
	v_mul_f32_e32 v74, 0x3f4a47b2, v101
	v_sub_f32_e32 v126, v15, v21
	v_fma_f32 v91, 0xbf5ff5aa, v91, -v98
	v_fmamk_f32 v92, v92, 0xbf955555, v84
	v_fmamk_f32 v90, v90, 0xbf955555, v105
	v_dual_fmamk_f32 v109, v111, 0xbeae86e6, v98 :: v_dual_add_f32 v120, v10, v8
	s_delay_alu instid0(VALU_DEP_4) | instskip(SKIP_3) | instid1(VALU_DEP_3)
	v_fmac_f32_e32 v91, 0xbee1c552, v94
	v_fmamk_f32 v101, v101, 0x3f4a47b2, v86
	v_dual_mul_f32 v87, 0x3d64c772, v99 :: v_dual_sub_f32 v8, v8, v10
	v_add_f32_e32 v118, v20, v12
	v_add_f32_e32 v98, v101, v90
	s_delay_alu instid0(VALU_DEP_3) | instskip(SKIP_1) | instid1(VALU_DEP_2)
	v_dual_mul_f32 v75, 0x3f4a47b2, v102 :: v_dual_fmamk_f32 v102, v102, 0x3f4a47b2, v87
	v_fma_f32 v87, 0x3f3bfb3b, v104, -v87
	v_fma_f32 v104, 0xbf3bfb3b, v104, -v75
	v_mul_f32_e32 v95, 0x3f08b237, v107
	v_fma_f32 v107, 0x3f3bfb3b, v103, -v86
	v_fma_f32 v103, 0xbf3bfb3b, v103, -v74
	v_add_f32_e32 v87, v87, v92
	s_delay_alu instid0(VALU_DEP_2) | instskip(SKIP_2) | instid1(VALU_DEP_2)
	v_add_f32_e32 v101, v103, v90
	v_mul_f32_e32 v99, 0xbf5ff5aa, v85
	v_add_f32_e32 v103, v70, v66
	v_fma_f32 v86, 0x3eae86e6, v110, -v99
	v_dual_add_f32 v99, v107, v90 :: v_dual_add_f32 v90, v104, v92
	v_fmamk_f32 v74, v110, 0xbeae86e6, v95
	v_fma_f32 v85, 0xbf5ff5aa, v85, -v95
	v_fma_f32 v95, 0x3eae86e6, v111, -v106
	s_delay_alu instid0(VALU_DEP_4) | instskip(NEXT) | instid1(VALU_DEP_4)
	v_sub_f32_e32 v115, v99, v91
	v_dual_add_f32 v75, v102, v92 :: v_dual_fmac_f32 v74, 0xbee1c552, v93
	s_delay_alu instid0(VALU_DEP_4)
	v_fmac_f32_e32 v85, 0xbee1c552, v93
	v_dual_fmac_f32 v86, 0xbee1c552, v93 :: v_dual_add_f32 v93, v82, v76
	v_sub_f32_e32 v82, v76, v82
	v_dual_fmac_f32 v109, 0xbee1c552, v94 :: v_dual_sub_f32 v76, v77, v83
	v_sub_f32_e32 v92, v78, v80
	v_add_f32_e32 v116, v99, v91
	v_add_f32_e32 v91, v83, v77
	v_dual_add_f32 v77, v80, v78 :: v_dual_add_f32 v78, v69, v65
	v_dual_fmac_f32 v95, 0xbee1c552, v94 :: v_dual_sub_f32 v106, v98, v109
	v_add_f32_e32 v83, v81, v79
	v_dual_sub_f32 v79, v79, v81 :: v_dual_sub_f32 v80, v66, v70
	s_delay_alu instid0(VALU_DEP_4)
	v_add_f32_e32 v81, v93, v77
	v_sub_f32_e32 v94, v77, v93
	v_sub_f32_e32 v77, v78, v77
	v_dual_add_f32 v107, v98, v109 :: v_dual_add_f32 v114, v101, v95
	v_sub_f32_e32 v121, v101, v95
	v_sub_f32_e32 v93, v93, v78
	v_dual_add_f32 v95, v79, v80 :: v_dual_add_f32 v78, v81, v78
	v_dual_sub_f32 v81, v80, v79 :: v_dual_sub_f32 v102, v65, v69
	v_dual_mul_f32 v77, 0x3d64c772, v77 :: v_dual_sub_f32 v66, v58, v72
	v_sub_f32_e32 v80, v76, v80
	v_dual_sub_f32 v79, v79, v76 :: v_dual_add_f32 v70, v72, v58
	v_dual_add_f32 v76, v76, v95 :: v_dual_mul_f32 v95, 0x3f4a47b2, v93
	s_delay_alu instid0(VALU_DEP_4)
	v_dual_fmamk_f32 v93, v93, 0x3f4a47b2, v77 :: v_dual_sub_f32 v58, v59, v73
	v_add_f32_e32 v65, v73, v59
	v_add_f32_e32 v59, v67, v63
	v_mul_f32_e32 v81, 0x3f08b237, v81
	v_mul_f32_e32 v98, 0xbf5ff5aa, v79
	v_fma_f32 v77, 0x3f3bfb3b, v94, -v77
	v_fma_f32 v94, 0xbf3bfb3b, v94, -v95
	v_add_f32_e32 v72, v70, v59
	v_fma_f32 v79, 0xbf5ff5aa, v79, -v81
	v_fmamk_f32 v95, v80, 0xbeae86e6, v81
	v_sub_f32_e32 v63, v63, v67
	v_add_f32_e32 v67, v56, v45
	v_fma_f32 v80, 0x3eae86e6, v80, -v98
	v_fmac_f32_e32 v79, 0xbee1c552, v76
	v_add_f32_e32 v61, v78, v61
	v_fmac_f32_e32 v95, 0xbee1c552, v76
	v_sub_f32_e32 v73, v59, v70
	v_dual_sub_f32 v59, v67, v59 :: v_dual_fmac_f32 v80, 0xbee1c552, v76
	s_delay_alu instid0(VALU_DEP_4) | instskip(SKIP_2) | instid1(VALU_DEP_4)
	v_fmamk_f32 v78, v78, 0xbf955555, v61
	v_sub_f32_e32 v70, v70, v67
	v_add_f32_e32 v67, v72, v67
	v_mul_f32_e32 v59, 0x3d64c772, v59
	v_sub_f32_e32 v111, v45, v56
	v_dual_add_f32 v81, v93, v78 :: v_dual_add_f32 v110, v40, v31
	s_delay_alu instid0(VALU_DEP_4) | instskip(SKIP_1) | instid1(VALU_DEP_3)
	v_add_f32_e32 v50, v67, v50
	v_dual_sub_f32 v98, v28, v34 :: v_dual_sub_f32 v109, v30, v39
	v_add_f32_e32 v69, v81, v95
	v_dual_sub_f32 v124, v81, v95 :: v_dual_add_f32 v81, v68, v64
	v_sub_f32_e32 v64, v64, v68
	v_dual_sub_f32 v68, v46, v57 :: v_dual_add_f32 v77, v77, v78
	v_dual_add_f32 v78, v94, v78 :: v_dual_fmamk_f32 v67, v67, 0xbf955555, v50
	v_add_f32_e32 v94, v55, v42
	s_delay_alu instid0(VALU_DEP_3) | instskip(SKIP_1) | instid1(VALU_DEP_4)
	v_sub_f32_e32 v72, v68, v64
	v_add_f32_e32 v95, v48, v44
	v_add_f32_e32 v76, v78, v80
	v_sub_f32_e32 v123, v78, v80
	v_add_f32_e32 v78, v64, v68
	v_sub_f32_e32 v68, v58, v68
	v_sub_f32_e32 v64, v64, v58
	v_mul_f32_e32 v72, 0x3f08b237, v72
	v_sub_f32_e32 v44, v44, v48
	v_add_f32_e32 v58, v58, v78
	v_mul_f32_e32 v78, 0x3f4a47b2, v70
	v_sub_f32_e32 v122, v77, v79
	v_dual_add_f32 v77, v77, v79 :: v_dual_fmamk_f32 v70, v70, 0x3f4a47b2, v59
	v_mul_f32_e32 v79, 0xbf5ff5aa, v64
	v_fma_f32 v64, 0xbf5ff5aa, v64, -v72
	v_dual_add_f32 v104, v33, v27 :: v_dual_sub_f32 v27, v27, v33
	s_delay_alu instid0(VALU_DEP_4) | instskip(SKIP_4) | instid1(VALU_DEP_4)
	v_add_f32_e32 v70, v70, v67
	v_fma_f32 v59, 0x3f3bfb3b, v73, -v59
	v_fma_f32 v73, 0xbf3bfb3b, v73, -v78
	v_fmamk_f32 v78, v68, 0xbeae86e6, v72
	v_fma_f32 v68, 0x3eae86e6, v68, -v79
	v_dual_fmac_f32 v64, 0xbee1c552, v58 :: v_dual_add_f32 v59, v59, v67
	v_add_nc_u32_e32 v142, 0x800, v141
	s_delay_alu instid0(VALU_DEP_4) | instskip(NEXT) | instid1(VALU_DEP_4)
	v_fmac_f32_e32 v78, 0xbee1c552, v58
	v_fmac_f32_e32 v68, 0xbee1c552, v58
	v_add_nc_u32_e32 v146, 0x1a00, v141
	v_sub_f32_e32 v56, v59, v64
	v_add_f32_e32 v57, v59, v64
	v_add_f32_e32 v45, v70, v78
	v_sub_f32_e32 v64, v41, v54
	v_add_f32_e32 v67, v73, v67
	v_dual_sub_f32 v59, v70, v78 :: v_dual_add_f32 v132, v85, v87
	v_sub_f32_e32 v85, v87, v85
	s_delay_alu instid0(VALU_DEP_3) | instskip(SKIP_4) | instid1(VALU_DEP_2)
	v_add_f32_e32 v46, v67, v68
	v_dual_sub_f32 v58, v67, v68 :: v_dual_add_f32 v67, v54, v41
	v_sub_f32_e32 v41, v42, v55
	v_add_f32_e32 v42, v47, v43
	v_add_nc_u32_e32 v134, 0xc00, v141
	v_add_f32_e32 v48, v67, v42
	v_sub_f32_e32 v93, v43, v47
	v_dual_add_f32 v43, v39, v30 :: v_dual_sub_f32 v54, v42, v67
	s_delay_alu instid0(VALU_DEP_1) | instskip(NEXT) | instid1(VALU_DEP_4)
	v_sub_f32_e32 v55, v67, v43
	v_dual_sub_f32 v42, v43, v42 :: v_dual_add_f32 v43, v48, v43
	s_delay_alu instid0(VALU_DEP_1) | instskip(NEXT) | instid1(VALU_DEP_1)
	v_dual_mul_f32 v42, 0x3d64c772, v42 :: v_dual_add_f32 v5, v43, v5
	v_fmamk_f32 v43, v43, 0xbf955555, v5
	v_sub_f32_e32 v47, v31, v40
	s_delay_alu instid0(VALU_DEP_1) | instskip(SKIP_1) | instid1(VALU_DEP_2)
	v_dual_add_f32 v67, v44, v47 :: v_dual_sub_f32 v48, v47, v44
	v_dual_sub_f32 v44, v44, v41 :: v_dual_sub_f32 v47, v41, v47
	v_dual_add_f32 v41, v41, v67 :: v_dual_mul_f32 v48, 0x3f08b237, v48
	s_delay_alu instid0(VALU_DEP_2) | instskip(SKIP_4) | instid1(VALU_DEP_4)
	v_mul_f32_e32 v68, 0xbf5ff5aa, v44
	v_mul_f32_e32 v67, 0x3f4a47b2, v55
	v_fmamk_f32 v55, v55, 0x3f4a47b2, v42
	v_fma_f32 v42, 0x3f3bfb3b, v54, -v42
	v_fma_f32 v44, 0xbf5ff5aa, v44, -v48
	;; [unrolled: 1-line block ×3, first 2 shown]
	v_fmamk_f32 v67, v47, 0xbeae86e6, v48
	v_fma_f32 v47, 0x3eae86e6, v47, -v68
	v_add_f32_e32 v48, v55, v43
	v_fmac_f32_e32 v44, 0xbee1c552, v41
	s_delay_alu instid0(VALU_DEP_4) | instskip(NEXT) | instid1(VALU_DEP_1)
	v_fmac_f32_e32 v67, 0xbee1c552, v41
	v_dual_fmac_f32 v47, 0xbee1c552, v41 :: v_dual_add_f32 v30, v48, v67
	v_add_f32_e32 v42, v42, v43
	v_add_f32_e32 v43, v54, v43
	s_delay_alu instid0(VALU_DEP_2) | instskip(NEXT) | instid1(VALU_DEP_2)
	v_sub_f32_e32 v39, v42, v44
	v_add_f32_e32 v31, v43, v47
	v_sub_f32_e32 v41, v43, v47
	v_add_f32_e32 v43, v34, v28
	v_dual_add_f32 v101, v35, v29 :: v_dual_sub_f32 v28, v29, v35
	v_add_f32_e32 v29, v32, v26
	v_dual_sub_f32 v99, v26, v32 :: v_dual_add_f32 v26, v21, v15
	v_sub_f32_e32 v32, v16, v22
	s_delay_alu instid0(VALU_DEP_3) | instskip(NEXT) | instid1(VALU_DEP_3)
	v_dual_add_f32 v40, v42, v44 :: v_dual_add_f32 v33, v43, v29
	v_dual_sub_f32 v34, v29, v43 :: v_dual_sub_f32 v35, v43, v26
	v_sub_f32_e32 v29, v26, v29
	s_delay_alu instid0(VALU_DEP_3) | instskip(SKIP_3) | instid1(VALU_DEP_4)
	v_dual_add_f32 v43, v27, v32 :: v_dual_add_f32 v26, v33, v26
	v_sub_f32_e32 v33, v32, v27
	v_sub_f32_e32 v27, v27, v28
	;; [unrolled: 1-line block ×3, first 2 shown]
	v_dual_add_f32 v28, v28, v43 :: v_dual_mul_f32 v29, 0x3d64c772, v29
	v_mul_f32_e32 v43, 0x3f4a47b2, v35
	v_mul_f32_e32 v33, 0x3f08b237, v33
	;; [unrolled: 1-line block ×3, first 2 shown]
	v_add_f32_e32 v3, v26, v3
	v_fmamk_f32 v35, v35, 0x3f4a47b2, v29
	v_fma_f32 v29, 0x3f3bfb3b, v34, -v29
	v_fma_f32 v34, 0xbf3bfb3b, v34, -v43
	v_fmamk_f32 v43, v32, 0xbeae86e6, v33
	v_fma_f32 v27, 0xbf5ff5aa, v27, -v33
	v_fma_f32 v32, 0x3eae86e6, v32, -v44
	v_fmamk_f32 v26, v26, 0xbf955555, v3
	s_delay_alu instid0(VALU_DEP_4) | instskip(NEXT) | instid1(VALU_DEP_4)
	v_dual_sub_f32 v42, v48, v67 :: v_dual_fmac_f32 v43, 0xbee1c552, v28
	v_fmac_f32_e32 v27, 0xbee1c552, v28
	s_delay_alu instid0(VALU_DEP_4) | instskip(SKIP_3) | instid1(VALU_DEP_2)
	v_fmac_f32_e32 v32, 0xbee1c552, v28
	v_dual_add_f32 v28, v19, v11 :: v_dual_sub_f32 v11, v12, v20
	v_dual_add_f32 v12, v17, v13 :: v_dual_sub_f32 v13, v14, v18
	v_add_f32_e32 v14, v9, v7
	v_dual_add_f32 v29, v29, v26 :: v_dual_add_f32 v10, v28, v12
	v_sub_f32_e32 v17, v12, v28
	s_delay_alu instid0(VALU_DEP_3) | instskip(SKIP_1) | instid1(VALU_DEP_4)
	v_sub_f32_e32 v18, v28, v14
	v_sub_f32_e32 v12, v14, v12
	v_dual_add_f32 v19, v13, v8 :: v_dual_add_f32 v10, v10, v14
	v_dual_add_f32 v33, v35, v26 :: v_dual_sub_f32 v14, v8, v13
	v_add_f32_e32 v125, v22, v16
	v_dual_sub_f32 v8, v11, v8 :: v_dual_sub_f32 v13, v13, v11
	s_delay_alu instid0(VALU_DEP_4)
	v_add_f32_e32 v11, v11, v19
	v_add_f32_e32 v19, v10, v1
	v_mul_f32_e32 v1, 0x3d64c772, v12
	v_mul_f32_e32 v12, 0x3f4a47b2, v18
	;; [unrolled: 1-line block ×4, first 2 shown]
	v_fmamk_f32 v10, v10, 0xbf955555, v19
	v_fmamk_f32 v18, v18, 0x3f4a47b2, v1
	v_fma_f32 v12, 0xbf3bfb3b, v17, -v12
	v_fma_f32 v1, 0x3f3bfb3b, v17, -v1
	v_fmamk_f32 v17, v8, 0xbeae86e6, v14
	v_fma_f32 v13, 0xbf5ff5aa, v13, -v14
	v_add_f32_e32 v14, v18, v10
	v_dual_add_f32 v12, v12, v10 :: v_dual_sub_f32 v21, v29, v27
	v_add_f32_e32 v10, v1, v10
	v_mad_u32_u24 v1, v140, 28, 0
	v_add_f32_e32 v26, v34, v26
	v_fma_f32 v8, 0x3eae86e6, v8, -v20
	s_delay_alu instid0(VALU_DEP_3)
	v_dual_add_f32 v22, v29, v27 :: v_dual_add_nc_u32 v67, 0xac0, v1
	v_add_nc_u32_e32 v78, 0xac8, v1
	v_add_nc_u32_e32 v79, 0x1014, v1
	;; [unrolled: 1-line block ×8, first 2 shown]
	ds_store_2addr_b32 v1, v23, v36 offset1:1
	ds_store_2addr_b32 v1, v37, v49 offset0:2 offset1:3
	ds_store_2addr_b32 v1, v60, v71 offset0:4 offset1:5
	ds_store_b32 v1, v100 offset:24
	ds_store_2addr_b32 v128, v105, v107 offset1:1
	ds_store_2addr_b32 v129, v114, v115 offset1:1
	;; [unrolled: 1-line block ×4, first 2 shown]
	v_add_nc_u32_e32 v69, 0x1570, v1
	v_add_nc_u32_e32 v70, 0x1578, v1
	;; [unrolled: 1-line block ×3, first 2 shown]
	v_add_f32_e32 v100, v91, v83
	v_sub_f32_e32 v105, v75, v74
	v_sub_f32_e32 v121, v90, v86
	v_add_f32_e32 v86, v86, v90
	ds_store_2addr_b32 v67, v76, v122 offset1:1
	ds_store_2addr_b32 v78, v77, v123 offset1:1
	;; [unrolled: 1-line block ×8, first 2 shown]
	v_sub_f32_e32 v122, v103, v83
	v_fmac_f32_e32 v13, 0xbee1c552, v11
	v_sub_f32_e32 v127, v7, v9
	ds_store_b32 v1, v106 offset:1396
	ds_store_b32 v1, v124 offset:2768
	;; [unrolled: 1-line block ×5, first 2 shown]
	v_add_f32_e32 v100, v100, v103
	v_dual_mul_f32 v122, 0x3d64c772, v122 :: v_dual_sub_f32 v103, v91, v103
	v_dual_add_f32 v124, v92, v102 :: v_dual_fmac_f32 v17, 0xbee1c552, v11
	s_delay_alu instid0(VALU_DEP_3) | instskip(SKIP_1) | instid1(VALU_DEP_3)
	v_dual_add_f32 v62, v100, v62 :: v_dual_sub_f32 v123, v102, v92
	v_sub_f32_e32 v102, v82, v102
	v_dual_add_f32 v124, v82, v124 :: v_dual_fmamk_f32 v133, v103, 0x3f4a47b2, v122
	v_mul_f32_e32 v90, 0x3f4a47b2, v103
	v_dual_sub_f32 v82, v92, v82 :: v_dual_sub_f32 v83, v83, v91
	v_dual_mul_f32 v123, 0x3f08b237, v123 :: v_dual_add_f32 v92, v65, v81
	v_fmamk_f32 v100, v100, 0xbf955555, v62
	s_delay_alu instid0(VALU_DEP_3) | instskip(NEXT) | instid1(VALU_DEP_4)
	v_mul_f32_e32 v91, 0xbf5ff5aa, v82
	v_fma_f32 v103, 0x3f3bfb3b, v83, -v122
	v_fma_f32 v83, 0xbf3bfb3b, v83, -v90
	v_add_f32_e32 v9, v14, v17
	v_add_nc_u32_e32 v73, 0x1ad8, v1
	v_add_nc_u32_e32 v106, 0xe00, v141
	s_delay_alu instid0(VALU_DEP_4)
	v_dual_add_f32 v83, v83, v100 :: v_dual_add_nc_u32 v114, 0x1800, v141
	v_fmamk_f32 v135, v102, 0xbeae86e6, v123
	v_add_f32_e32 v87, v133, v100
	v_fma_f32 v90, 0x3eae86e6, v102, -v91
	v_add_f32_e32 v91, v92, v112
	v_add_f32_e32 v92, v103, v100
	v_sub_f32_e32 v100, v112, v81
	v_dual_sub_f32 v102, v111, v63 :: v_dual_add_nc_u32 v77, 0x1ad0, v1
	s_delay_alu instid0(VALU_DEP_4) | instskip(SKIP_1) | instid1(VALU_DEP_4)
	v_dual_add_f32 v51, v91, v51 :: v_dual_add_nc_u32 v144, 0x2000, v141
	v_dual_sub_f32 v103, v65, v112 :: v_dual_add_f32 v112, v63, v111
	v_dual_mul_f32 v100, 0x3d64c772, v100 :: v_dual_sub_f32 v63, v63, v66
	s_delay_alu instid0(VALU_DEP_4)
	v_dual_sub_f32 v111, v66, v111 :: v_dual_mul_f32 v102, 0x3f08b237, v102
	v_fmac_f32_e32 v8, 0xbee1c552, v11
	v_fma_f32 v82, 0xbf5ff5aa, v82, -v123
	v_dual_fmac_f32 v90, 0xbee1c552, v124 :: v_dual_sub_f32 v65, v81, v65
	v_dual_add_f32 v112, v66, v112 :: v_dual_add_nc_u32 v3, 0x202c, v1
	v_fmamk_f32 v91, v91, 0xbf955555, v51
	v_fmamk_f32 v122, v103, 0x3f4a47b2, v100
	;; [unrolled: 1-line block ×3, first 2 shown]
	v_fmac_f32_e32 v135, 0xbee1c552, v124
	v_dual_add_f32 v15, v33, v43 :: v_dual_sub_f32 v18, v10, v13
	v_add_f32_e32 v16, v26, v32
	v_dual_add_f32 v11, v12, v8 :: v_dual_add_nc_u32 v76, 0x1ae0, v1
	v_dual_sub_f32 v136, v83, v90 :: v_dual_add_nc_u32 v7, 0x203c, v1
	v_add_nc_u32_e32 v107, 0x1200, v141
	v_dual_fmac_f32 v82, 0xbee1c552, v124 :: v_dual_add_f32 v83, v90, v83
	v_add_nc_u32_e32 v143, 0x1400, v141
	v_sub_f32_e32 v90, v89, v97
	v_dual_add_f32 v122, v122, v91 :: v_dual_add_nc_u32 v145, 0x400, v141
	v_dual_sub_f32 v26, v26, v32 :: v_dual_sub_f32 v27, v33, v43
	v_add_f32_e32 v10, v10, v13
	v_dual_sub_f32 v124, v87, v135 :: v_dual_add_nc_u32 v5, 0x2034, v1
	v_add_nc_u32_e32 v115, 0x600, v141
	v_dual_add_f32 v133, v82, v92 :: v_dual_add_nc_u32 v116, 0x1c00, v141
	v_fmac_f32_e32 v123, 0xbee1c552, v112
	v_dual_sub_f32 v8, v12, v8 :: v_dual_add_nc_u32 v147, 0x1000, v141
	v_sub_f32_e32 v12, v14, v17
	ds_store_2addr_b32 v73, v21, v22 offset1:1
	ds_store_2addr_b32 v76, v26, v27 offset1:1
	;; [unrolled: 1-line block ×3, first 2 shown]
	ds_store_b32 v1, v19 offset:8232
	ds_store_2addr_b32 v3, v9, v11 offset1:1
	ds_store_2addr_b32 v5, v18, v10 offset1:1
	;; [unrolled: 1-line block ×3, first 2 shown]
	s_waitcnt lgkmcnt(0)
	s_barrier
	buffer_gl0_inv
	ds_load_2addr_b32 v[14:15], v141 offset1:49
	ds_load_2addr_b32 v[8:9], v145 offset0:38 offset1:87
	ds_load_2addr_b32 v[16:17], v142 offset0:174 offset1:223
	;; [unrolled: 1-line block ×3, first 2 shown]
	v_sub_f32_e32 v82, v92, v82
	ds_load_2addr_b32 v[30:31], v143 offset0:92 offset1:141
	ds_load_2addr_b32 v[41:42], v114 offset0:130 offset1:179
	;; [unrolled: 1-line block ×10, first 2 shown]
	v_sub_f32_e32 v92, v88, v96
	ds_load_b32 v71, v141 offset:9408
	ds_load_2addr_b32 v[26:27], v115 offset0:106 offset1:155
	ds_load_2addr_b32 v[39:40], v147 offset0:152 offset1:201
	;; [unrolled: 1-line block ×10, first 2 shown]
	s_waitcnt lgkmcnt(0)
	s_barrier
	buffer_gl0_inv
	ds_store_2addr_b32 v128, v84, v105 offset1:1
	ds_store_2addr_b32 v129, v121, v132 offset1:1
	ds_store_2addr_b32 v130, v85, v86 offset1:1
	ds_store_2addr_b32 v131, v62, v124 offset1:1
	v_add_f32_e32 v62, v108, v97
	v_dual_sub_f32 v86, v108, v89 :: v_dual_sub_f32 v85, v97, v108
	v_mul_f32_e32 v90, 0x3d64c772, v90
	v_mul_f32_e32 v66, 0xbf5ff5aa, v63
	s_delay_alu instid0(VALU_DEP_4)
	v_dual_add_f32 v62, v62, v89 :: v_dual_add_f32 v89, v96, v88
	v_sub_f32_e32 v88, v0, v88
	v_sub_f32_e32 v96, v96, v0
	v_fma_f32 v63, 0xbf5ff5aa, v63, -v102
	v_add_f32_e32 v74, v74, v75
	v_dual_add_f32 v0, v0, v89 :: v_dual_mul_f32 v89, 0x3f4a47b2, v86
	s_delay_alu instid0(VALU_DEP_4) | instskip(NEXT) | instid1(VALU_DEP_4)
	v_dual_add_f32 v38, v62, v38 :: v_dual_mul_f32 v97, 0xbf5ff5aa, v96
	v_fmac_f32_e32 v63, 0xbee1c552, v112
	v_dual_add_f32 v75, v135, v87 :: v_dual_fmamk_f32 v86, v86, 0x3f4a47b2, v90
	v_fma_f32 v90, 0x3f3bfb3b, v85, -v90
	s_delay_alu instid0(VALU_DEP_4) | instskip(SKIP_3) | instid1(VALU_DEP_4)
	v_fmamk_f32 v62, v62, 0xbf955555, v38
	v_fma_f32 v85, 0xbf3bfb3b, v85, -v89
	v_sub_f32_e32 v102, v126, v99
	v_dual_sub_f32 v84, v122, v123 :: v_dual_add_nc_u32 v135, 0x126, v140
	v_add_f32_e32 v90, v90, v62
	v_add_f32_e32 v86, v86, v62
	;; [unrolled: 1-line block ×3, first 2 shown]
	v_mul_f32_e32 v92, 0x3f08b237, v92
	v_mul_f32_e32 v102, 0x3f08b237, v102
	s_delay_alu instid0(VALU_DEP_2) | instskip(SKIP_2) | instid1(VALU_DEP_3)
	v_fmamk_f32 v89, v88, 0xbeae86e6, v92
	v_fma_f32 v88, 0x3eae86e6, v88, -v97
	v_sub_f32_e32 v97, v64, v109
	v_fmac_f32_e32 v89, 0xbee1c552, v0
	s_delay_alu instid0(VALU_DEP_3) | instskip(NEXT) | instid1(VALU_DEP_1)
	v_fmac_f32_e32 v88, 0xbee1c552, v0
	v_add_f32_e32 v81, v88, v62
	v_fma_f32 v96, 0xbf5ff5aa, v96, -v92
	v_fma_f32 v92, 0x3f3bfb3b, v65, -v100
	s_delay_alu instid0(VALU_DEP_2) | instskip(NEXT) | instid1(VALU_DEP_1)
	v_fmac_f32_e32 v96, 0xbee1c552, v0
	v_dual_add_f32 v0, v96, v90 :: v_dual_sub_f32 v85, v90, v96
	v_sub_f32_e32 v90, v62, v88
	v_dual_mul_f32 v62, 0x3f4a47b2, v103 :: v_dual_sub_f32 v103, v98, v126
	s_delay_alu instid0(VALU_DEP_1) | instskip(SKIP_2) | instid1(VALU_DEP_2)
	v_fma_f32 v62, 0xbf3bfb3b, v65, -v62
	v_fma_f32 v65, 0x3eae86e6, v111, -v66
	v_dual_add_f32 v66, v92, v91 :: v_dual_sub_f32 v111, v117, v113
	v_dual_add_f32 v62, v62, v91 :: v_dual_fmac_f32 v65, 0xbee1c552, v112
	v_sub_f32_e32 v88, v86, v89
	v_add_f32_e32 v86, v89, v86
	s_delay_alu instid0(VALU_DEP_4)
	v_add_f32_e32 v87, v63, v66
	v_sub_f32_e32 v89, v66, v63
	v_dual_sub_f32 v91, v62, v65 :: v_dual_add_f32 v92, v65, v62
	v_dual_add_f32 v62, v94, v95 :: v_dual_sub_f32 v63, v95, v94
	v_dual_sub_f32 v66, v110, v95 :: v_dual_sub_f32 v95, v109, v93
	v_dual_sub_f32 v65, v94, v110 :: v_dual_add_f32 v94, v93, v109
	s_delay_alu instid0(VALU_DEP_2) | instskip(NEXT) | instid1(VALU_DEP_3)
	v_dual_sub_f32 v93, v93, v64 :: v_dual_mul_f32 v66, 0x3d64c772, v66
	v_mul_f32_e32 v95, 0x3f08b237, v95
	s_delay_alu instid0(VALU_DEP_3) | instskip(NEXT) | instid1(VALU_DEP_3)
	v_dual_sub_f32 v109, v127, v117 :: v_dual_add_f32 v64, v64, v94
	v_mul_f32_e32 v100, 0xbf5ff5aa, v93
	ds_store_2addr_b32 v1, v38, v88 offset1:1
	ds_store_2addr_b32 v1, v90, v0 offset0:2 offset1:3
	ds_store_2addr_b32 v1, v85, v81 offset0:4 offset1:5
	ds_store_b32 v1, v86 offset:24
	ds_store_2addr_b32 v67, v136, v133 offset1:1
	ds_store_2addr_b32 v78, v82, v83 offset1:1
	;; [unrolled: 1-line block ×4, first 2 shown]
	v_fma_f32 v93, 0xbf5ff5aa, v93, -v95
	v_fmamk_f32 v95, v97, 0xbeae86e6, v95
	v_mul_f32_e32 v109, 0x3f08b237, v109
	s_delay_alu instid0(VALU_DEP_3) | instskip(SKIP_3) | instid1(VALU_DEP_3)
	v_fmac_f32_e32 v93, 0xbee1c552, v64
	v_dual_mul_f32 v94, 0x3f4a47b2, v65 :: v_dual_fmamk_f32 v65, v65, 0x3f4a47b2, v66
	v_fma_f32 v66, 0x3f3bfb3b, v63, -v66
	v_dual_fmac_f32 v95, 0xbee1c552, v64 :: v_dual_add_f32 v62, v62, v110
	v_fma_f32 v63, 0xbf3bfb3b, v63, -v94
	v_fma_f32 v94, 0x3eae86e6, v97, -v100
	v_sub_f32_e32 v110, v113, v127
	s_delay_alu instid0(VALU_DEP_4) | instskip(NEXT) | instid1(VALU_DEP_3)
	v_add_f32_e32 v6, v62, v6
	v_fmac_f32_e32 v94, 0xbee1c552, v64
	v_add_f32_e32 v64, v101, v104
	s_delay_alu instid0(VALU_DEP_3) | instskip(NEXT) | instid1(VALU_DEP_2)
	v_fmamk_f32 v62, v62, 0xbf955555, v6
	v_add_f32_e32 v64, v64, v125
	s_delay_alu instid0(VALU_DEP_2) | instskip(SKIP_2) | instid1(VALU_DEP_3)
	v_add_f32_e32 v66, v66, v62
	v_add_f32_e32 v63, v63, v62
	;; [unrolled: 1-line block ×3, first 2 shown]
	v_dual_add_f32 v4, v64, v4 :: v_dual_add_f32 v97, v93, v66
	s_delay_alu instid0(VALU_DEP_1)
	v_dual_sub_f32 v93, v66, v93 :: v_dual_fmamk_f32 v64, v64, 0xbf955555, v4
	v_add_f32_e32 v62, v65, v62
	v_sub_f32_e32 v100, v63, v94
	v_dual_add_f32 v94, v94, v63 :: v_dual_sub_f32 v63, v104, v101
	v_sub_f32_e32 v65, v101, v125
	v_dual_sub_f32 v66, v125, v104 :: v_dual_add_f32 v101, v99, v126
	v_sub_f32_e32 v99, v99, v98
	s_delay_alu instid0(VALU_DEP_2) | instskip(NEXT) | instid1(VALU_DEP_3)
	v_mul_f32_e32 v66, 0x3d64c772, v66
	v_add_f32_e32 v98, v98, v101
	v_mul_f32_e32 v101, 0x3f4a47b2, v65
	s_delay_alu instid0(VALU_DEP_4)
	v_mul_f32_e32 v104, 0xbf5ff5aa, v99
	v_fma_f32 v99, 0xbf5ff5aa, v99, -v102
	v_fmamk_f32 v65, v65, 0x3f4a47b2, v66
	v_fma_f32 v66, 0x3f3bfb3b, v63, -v66
	v_fma_f32 v63, 0xbf3bfb3b, v63, -v101
	v_fmamk_f32 v101, v103, 0xbeae86e6, v102
	v_fma_f32 v102, 0x3eae86e6, v103, -v104
	v_add_f32_e32 v65, v65, v64
	s_delay_alu instid0(VALU_DEP_4) | instskip(NEXT) | instid1(VALU_DEP_3)
	v_add_f32_e32 v63, v63, v64
	v_dual_sub_f32 v103, v62, v95 :: v_dual_fmac_f32 v102, 0xbee1c552, v98
	v_dual_add_f32 v95, v95, v62 :: v_dual_add_f32 v62, v118, v119
	ds_store_2addr_b32 v68, v89, v92 offset1:1
	ds_store_2addr_b32 v69, v6, v103 offset1:1
	ds_store_2addr_b32 v70, v100, v97 offset1:1
	ds_store_2addr_b32 v72, v93, v94 offset1:1
	v_add_nc_u16 v69, v140, 0x62
	v_sub_f32_e32 v105, v63, v102
	v_fmac_f32_e32 v101, 0xbee1c552, v98
	v_dual_fmac_f32 v99, 0xbee1c552, v98 :: v_dual_add_f32 v108, v62, v120
	v_add_nc_u16 v62, v140, 0x93
	v_and_b32_e32 v70, 0xff, v69
	s_delay_alu instid0(VALU_DEP_4) | instskip(SKIP_2) | instid1(VALU_DEP_1)
	v_sub_f32_e32 v98, v65, v101
	v_add_f32_e32 v101, v101, v65
	v_dual_sub_f32 v65, v120, v119 :: v_dual_add_f32 v66, v66, v64
	v_dual_add_f32 v2, v108, v2 :: v_dual_mul_f32 v65, 0x3d64c772, v65
	s_delay_alu instid0(VALU_DEP_2) | instskip(SKIP_1) | instid1(VALU_DEP_3)
	v_dual_add_f32 v104, v99, v66 :: v_dual_sub_f32 v99, v66, v99
	v_add_f32_e32 v66, v117, v127
	v_fmamk_f32 v108, v108, 0xbf955555, v2
	s_delay_alu instid0(VALU_DEP_2)
	v_add_f32_e32 v112, v113, v66
	v_dual_add_f32 v102, v102, v63 :: v_dual_sub_f32 v63, v119, v118
	ds_store_b32 v1, v74 offset:1396
	ds_store_b32 v1, v75 offset:2768
	;; [unrolled: 1-line block ×5, first 2 shown]
	v_fma_f32 v113, 0x3f3bfb3b, v63, -v65
	s_delay_alu instid0(VALU_DEP_1) | instskip(SKIP_1) | instid1(VALU_DEP_1)
	v_add_f32_e32 v113, v113, v108
	v_sub_f32_e32 v64, v118, v120
	v_mul_f32_e32 v66, 0x3f4a47b2, v64
	s_delay_alu instid0(VALU_DEP_1) | instskip(SKIP_4) | instid1(VALU_DEP_4)
	v_fma_f32 v117, 0xbf3bfb3b, v63, -v66
	v_mul_f32_e32 v66, 0xbf5ff5aa, v111
	v_fma_f32 v111, 0xbf5ff5aa, v111, -v109
	v_fmamk_f32 v109, v110, 0xbeae86e6, v109
	v_add_nc_u16 v63, v140, 0xc4
	v_fma_f32 v110, 0x3eae86e6, v110, -v66
	s_delay_alu instid0(VALU_DEP_4) | instskip(NEXT) | instid1(VALU_DEP_4)
	v_fmac_f32_e32 v111, 0xbee1c552, v112
	v_fmac_f32_e32 v109, 0xbee1c552, v112
	ds_store_2addr_b32 v73, v104, v99 offset1:1
	ds_store_2addr_b32 v76, v102, v101 offset1:1
	v_fmac_f32_e32 v110, 0xbee1c552, v112
	v_dual_add_f32 v120, v111, v113 :: v_dual_sub_f32 v111, v113, v111
	v_fmamk_f32 v64, v64, 0x3f4a47b2, v65
	s_delay_alu instid0(VALU_DEP_1) | instskip(NEXT) | instid1(VALU_DEP_1)
	v_dual_add_f32 v64, v64, v108 :: v_dual_and_b32 v65, 0xff, v62
	v_mul_lo_u16 v118, v65, 37
	v_add_f32_e32 v108, v117, v108
	s_delay_alu instid0(VALU_DEP_2) | instskip(NEXT) | instid1(VALU_DEP_2)
	v_lshrrev_b16 v118, 8, v118
	v_sub_f32_e32 v112, v108, v110
	v_add_f32_e32 v108, v110, v108
	s_delay_alu instid0(VALU_DEP_3) | instskip(NEXT) | instid1(VALU_DEP_1)
	v_sub_nc_u16 v117, v62, v118
	v_lshrrev_b16 v117, 1, v117
	s_delay_alu instid0(VALU_DEP_1)
	v_and_b32_e32 v110, 0x7f, v117
	v_sub_f32_e32 v117, v64, v109
	v_add_f32_e32 v109, v109, v64
	ds_store_2addr_b32 v77, v98, v105 offset1:1
	ds_store_b32 v1, v2 offset:8232
	v_and_b32_e32 v77, 0xff, v140
	v_add_nc_u16 v110, v110, v118
	ds_store_2addr_b32 v3, v117, v112 offset1:1
	ds_store_2addr_b32 v5, v120, v111 offset1:1
	;; [unrolled: 1-line block ×3, first 2 shown]
	s_waitcnt lgkmcnt(0)
	s_barrier
	buffer_gl0_inv
	v_lshrrev_b16 v51, 2, v110
	v_add_nc_u32_e32 v64, 0xf5, v140
	v_add_nc_u16 v3, v140, 49
	v_mul_lo_u16 v77, v77, 37
	s_delay_alu instid0(VALU_DEP_4) | instskip(NEXT) | instid1(VALU_DEP_4)
	v_mul_lo_u16 v6, v51, 7
	v_and_b32_e32 v67, 0xffff, v64
	s_delay_alu instid0(VALU_DEP_4) | instskip(NEXT) | instid1(VALU_DEP_3)
	v_and_b32_e32 v5, 0xff, v3
	v_sub_nc_u16 v4, v62, v6
	s_delay_alu instid0(VALU_DEP_3) | instskip(NEXT) | instid1(VALU_DEP_3)
	v_mul_u32_u24_e32 v68, 0x2493, v67
	v_mul_lo_u16 v5, v5, 37
	s_delay_alu instid0(VALU_DEP_3) | instskip(NEXT) | instid1(VALU_DEP_2)
	v_and_b32_e32 v99, 0xff, v4
	v_lshrrev_b16 v5, 8, v5
	s_delay_alu instid0(VALU_DEP_2) | instskip(NEXT) | instid1(VALU_DEP_1)
	v_mul_u32_u24_e32 v1, 6, v99
	v_lshlrev_b32_e32 v1, 3, v1
	global_load_b128 v[72:75], v1, s[8:9] offset:32
	v_and_b32_e32 v66, 0xff, v63
	s_delay_alu instid0(VALU_DEP_1) | instskip(NEXT) | instid1(VALU_DEP_1)
	v_mul_lo_u16 v119, v66, 37
	v_lshrrev_b16 v119, 8, v119
	s_delay_alu instid0(VALU_DEP_1) | instskip(NEXT) | instid1(VALU_DEP_1)
	v_sub_nc_u16 v113, v63, v119
	v_lshrrev_b16 v113, 1, v113
	s_delay_alu instid0(VALU_DEP_1) | instskip(NEXT) | instid1(VALU_DEP_1)
	v_and_b32_e32 v0, 0x7f, v113
	v_add_nc_u16 v0, v0, v119
	s_delay_alu instid0(VALU_DEP_1) | instskip(SKIP_2) | instid1(VALU_DEP_3)
	v_lshrrev_b16 v38, 2, v0
	v_lshrrev_b32_e32 v0, 16, v68
	v_and_b32_e32 v68, 0xffff, v135
	v_mul_lo_u16 v4, v38, 7
	s_delay_alu instid0(VALU_DEP_3) | instskip(NEXT) | instid1(VALU_DEP_2)
	v_sub_nc_u16 v6, v64, v0
	v_sub_nc_u16 v2, v63, v4
	s_delay_alu instid0(VALU_DEP_2) | instskip(NEXT) | instid1(VALU_DEP_2)
	v_lshrrev_b16 v4, 1, v6
	v_and_b32_e32 v119, 0xff, v2
	v_mul_u32_u24_e32 v2, 0x2493, v68
	s_delay_alu instid0(VALU_DEP_3) | instskip(SKIP_1) | instid1(VALU_DEP_3)
	v_add_nc_u16 v0, v4, v0
	v_mul_lo_u16 v4, v70, 37
	v_lshrrev_b32_e32 v2, 16, v2
	s_delay_alu instid0(VALU_DEP_3) | instskip(NEXT) | instid1(VALU_DEP_3)
	v_lshrrev_b16 v118, 2, v0
	v_lshrrev_b16 v4, 8, v4
	v_mul_u32_u24_e32 v0, 6, v119
	s_delay_alu instid0(VALU_DEP_4) | instskip(NEXT) | instid1(VALU_DEP_4)
	v_sub_nc_u16 v6, v135, v2
	v_mul_lo_u16 v7, v118, 7
	s_delay_alu instid0(VALU_DEP_4) | instskip(NEXT) | instid1(VALU_DEP_3)
	v_sub_nc_u16 v76, v69, v4
	v_lshrrev_b16 v6, 1, v6
	s_delay_alu instid0(VALU_DEP_3) | instskip(NEXT) | instid1(VALU_DEP_2)
	v_sub_nc_u16 v7, v64, v7
	v_add_nc_u16 v2, v6, v2
	s_delay_alu instid0(VALU_DEP_4) | instskip(SKIP_1) | instid1(VALU_DEP_4)
	v_lshrrev_b16 v6, 1, v76
	v_sub_nc_u16 v76, v3, v5
	v_and_b32_e32 v124, 0xffff, v7
	s_delay_alu instid0(VALU_DEP_4) | instskip(NEXT) | instid1(VALU_DEP_4)
	v_lshrrev_b16 v102, 2, v2
	v_and_b32_e32 v2, 0x7f, v6
	s_delay_alu instid0(VALU_DEP_4) | instskip(SKIP_1) | instid1(VALU_DEP_4)
	v_lshrrev_b16 v6, 1, v76
	v_lshrrev_b16 v76, 8, v77
	v_mul_lo_u16 v77, v102, 7
	s_delay_alu instid0(VALU_DEP_4) | instskip(NEXT) | instid1(VALU_DEP_4)
	v_add_nc_u16 v2, v2, v4
	v_and_b32_e32 v4, 0x7f, v6
	s_delay_alu instid0(VALU_DEP_4) | instskip(NEXT) | instid1(VALU_DEP_4)
	v_sub_nc_u16 v6, v140, v76
	v_sub_nc_u16 v7, v135, v77
	s_delay_alu instid0(VALU_DEP_4) | instskip(NEXT) | instid1(VALU_DEP_4)
	v_lshrrev_b16 v156, 2, v2
	v_add_nc_u16 v2, v4, v5
	v_mul_u32_u24_e32 v4, 6, v124
	v_lshrrev_b16 v5, 1, v6
	v_and_b32_e32 v109, 0xffff, v7
	v_mul_lo_u16 v6, v156, 7
	v_lshrrev_b16 v161, 2, v2
	v_lshlrev_b32_e32 v2, 3, v4
	v_and_b32_e32 v4, 0x7f, v5
	v_mul_u32_u24_e32 v5, 6, v109
	v_sub_nc_u16 v6, v69, v6
	v_mul_lo_u16 v7, v161, 7
	global_load_b128 v[92:95], v2, s[8:9] offset:32
	v_add_nc_u16 v4, v4, v76
	v_lshlrev_b32_e32 v5, 3, v5
	v_and_b32_e32 v159, 0xff, v6
	v_sub_nc_u16 v3, v3, v7
	s_delay_alu instid0(VALU_DEP_4) | instskip(SKIP_2) | instid1(VALU_DEP_1)
	v_lshrrev_b16 v164, 2, v4
	global_load_b128 v[110:113], v5, s[8:9] offset:32
	v_mul_u32_u24_e32 v4, 6, v159
	v_lshlrev_b32_e32 v4, 3, v4
	global_load_b128 v[120:123], v4, s[8:9] offset:32
	v_and_b32_e32 v162, 0xff, v3
	v_mul_lo_u16 v3, v164, 7
	s_delay_alu instid0(VALU_DEP_2) | instskip(NEXT) | instid1(VALU_DEP_2)
	v_mul_u32_u24_e32 v6, 6, v162
	v_sub_nc_u16 v3, v140, v3
	s_delay_alu instid0(VALU_DEP_2) | instskip(SKIP_4) | instid1(VALU_DEP_1)
	v_lshlrev_b32_e32 v6, 3, v6
	global_load_b128 v[126:129], v6, s[8:9] offset:32
	v_lshlrev_b32_e32 v0, 3, v0
	global_load_b128 v[82:85], v0, s[8:9] offset:32
	v_and_b32_e32 v163, 0xff, v3
	v_mul_u32_u24_e32 v3, 6, v163
	s_delay_alu instid0(VALU_DEP_1)
	v_lshlrev_b32_e32 v7, 3, v3
	s_clause 0xe
	global_load_b128 v[136:139], v7, s[8:9] offset:32
	global_load_b128 v[148:151], v5, s[8:9] offset:16
	;; [unrolled: 1-line block ×8, first 2 shown]
	global_load_b128 v[185:188], v5, s[8:9]
	global_load_b128 v[189:192], v2, s[8:9]
	;; [unrolled: 1-line block ×7, first 2 shown]
	ds_load_2addr_b32 v[76:77], v116 offset0:70 offset1:119
	ds_load_2addr_b32 v[96:97], v144 offset0:108 offset1:157
	;; [unrolled: 1-line block ×4, first 2 shown]
	s_waitcnt vmcnt(20) lgkmcnt(3)
	v_mul_f32_e32 v87, v76, v73
	v_mul_f32_e32 v73, v58, v73
	s_delay_alu instid0(VALU_DEP_2) | instskip(NEXT) | instid1(VALU_DEP_2)
	v_fmac_f32_e32 v87, v58, v72
	v_fma_f32 v90, v76, v72, -v73
	ds_load_2addr_b32 v[72:73], v146 offset0:100 offset1:149
	s_waitcnt vmcnt(18)
	v_mul_f32_e32 v81, v71, v113
	s_waitcnt vmcnt(16) lgkmcnt(0)
	v_mul_f32_e32 v125, v72, v127
	v_mul_f32_e32 v88, v97, v75
	;; [unrolled: 1-line block ×3, first 2 shown]
	s_delay_alu instid0(VALU_DEP_3) | instskip(NEXT) | instid1(VALU_DEP_3)
	v_fmac_f32_e32 v125, v47, v126
	v_fmac_f32_e32 v88, v50, v74
	ds_load_b32 v50, v141 offset:9408
	s_waitcnt vmcnt(15)
	v_mul_f32_e32 v58, v59, v83
	v_mul_f32_e32 v79, v77, v83
	v_fma_f32 v91, v97, v74, -v75
	v_mul_f32_e32 v76, v56, v85
	v_mul_f32_e32 v74, v103, v93
	v_fma_f32 v83, v77, v82, -v58
	v_mul_f32_e32 v58, v104, v111
	v_dual_mul_f32 v80, v100, v85 :: v_dual_fmac_f32 v79, v59, v82
	v_fma_f32 v85, v100, v84, -v76
	v_mul_f32_e32 v76, v60, v93
	v_fmac_f32_e32 v74, v60, v92
	v_mul_f32_e32 v60, v61, v111
	v_fmac_f32_e32 v58, v61, v110
	v_mul_f32_e32 v75, v101, v95
	v_fma_f32 v78, v103, v92, -v76
	v_mul_f32_e32 v103, v73, v121
	v_fma_f32 v60, v104, v110, -v60
	v_mul_f32_e32 v104, v96, v123
	s_waitcnt lgkmcnt(0)
	v_fma_f32 v61, v50, v112, -v81
	ds_load_2addr_b32 v[81:82], v114 offset0:130 offset1:179
	v_mul_f32_e32 v59, v50, v113
	v_fmac_f32_e32 v75, v57, v94
	v_dual_mul_f32 v50, v49, v123 :: v_dual_fmac_f32 v103, v48, v120
	s_waitcnt vmcnt(12)
	s_delay_alu instid0(VALU_DEP_3) | instskip(SKIP_1) | instid1(VALU_DEP_3)
	v_dual_mul_f32 v86, v44, v155 :: v_dual_fmac_f32 v59, v71, v112
	v_mul_f32_e32 v71, v48, v121
	v_fma_f32 v110, v96, v122, -v50
	v_dual_mul_f32 v50, v47, v127 :: v_dual_mul_f32 v47, v46, v129
	v_mul_f32_e32 v76, v55, v149
	s_delay_alu instid0(VALU_DEP_4) | instskip(SKIP_1) | instid1(VALU_DEP_4)
	v_fma_f32 v113, v73, v120, -v71
	v_mul_f32_e32 v73, v42, v137
	v_fma_f32 v131, v72, v126, -v50
	v_mul_f32_e32 v50, v45, v139
	s_waitcnt lgkmcnt(0)
	v_dual_mul_f32 v71, v81, v151 :: v_dual_fmac_f32 v80, v56, v84
	v_mul_f32_e32 v56, v57, v95
	s_delay_alu instid0(VALU_DEP_2) | instskip(NEXT) | instid1(VALU_DEP_2)
	v_fmac_f32_e32 v71, v41, v150
	v_fma_f32 v77, v101, v94, -v56
	ds_load_2addr_b32 v[56:57], v144 offset0:10 offset1:59
	ds_load_2addr_b32 v[94:95], v114 offset0:32 offset1:81
	s_waitcnt lgkmcnt(1)
	v_mul_f32_e32 v127, v57, v129
	s_waitcnt vmcnt(11) lgkmcnt(0)
	v_dual_mul_f32 v93, v94, v168 :: v_dual_fmac_f32 v104, v49, v122
	ds_load_2addr_b32 v[48:49], v107 offset0:122 offset1:171
	v_fma_f32 v133, v57, v128, -v47
	v_fmac_f32_e32 v127, v46, v128
	v_fmac_f32_e32 v93, v43, v167
	v_dual_mul_f32 v46, v56, v139 :: v_dual_mul_f32 v47, v82, v137
	s_delay_alu instid0(VALU_DEP_1)
	v_fmac_f32_e32 v46, v45, v138
	v_fma_f32 v45, v56, v138, -v50
	ds_load_2addr_b32 v[56:57], v147 offset0:152 offset1:201
	v_dual_fmac_f32 v47, v42, v136 :: v_dual_mul_f32 v50, v41, v151
	v_fma_f32 v42, v82, v136, -v73
	v_dual_mul_f32 v41, v54, v153 :: v_dual_mul_f32 v82, v95, v155
	s_delay_alu instid0(VALU_DEP_3)
	v_fma_f32 v73, v81, v150, -v50
	s_waitcnt lgkmcnt(1)
	v_mul_f32_e32 v72, v49, v149
	v_mul_f32_e32 v81, v48, v153
	v_fma_f32 v84, v48, v152, -v41
	v_dual_fmac_f32 v82, v44, v154 :: v_dual_mul_f32 v41, v43, v168
	v_mul_f32_e32 v44, v40, v166
	s_waitcnt vmcnt(10)
	v_mul_f32_e32 v43, v39, v170
	v_fmac_f32_e32 v81, v54, v152
	v_fma_f32 v76, v49, v148, -v76
	ds_load_2addr_b32 v[49:50], v143 offset0:190 offset1:239
	v_fma_f32 v97, v94, v167, -v41
	s_waitcnt lgkmcnt(1)
	v_fma_f32 v98, v57, v165, -v44
	v_fma_f32 v112, v56, v169, -v43
	ds_load_2addr_b32 v[43:44], v106 offset0:84 offset1:133
	v_fmac_f32_e32 v72, v55, v148
	ds_load_2addr_b32 v[54:55], v147 offset0:54 offset1:103
	v_mul_f32_e32 v96, v57, v166
	v_mul_f32_e32 v105, v56, v170
	s_waitcnt vmcnt(9)
	v_mul_f32_e32 v48, v36, v176
	s_delay_alu instid0(VALU_DEP_3) | instskip(SKIP_4) | instid1(VALU_DEP_1)
	v_fmac_f32_e32 v96, v40, v165
	ds_load_2addr_b32 v[40:41], v143 offset0:92 offset1:141
	v_fmac_f32_e32 v105, v39, v169
	v_mul_f32_e32 v39, v37, v172
	s_waitcnt lgkmcnt(3)
	v_fma_f32 v120, v50, v171, -v39
	v_mul_f32_e32 v39, v35, v174
	s_waitcnt vmcnt(7)
	v_dual_mul_f32 v111, v50, v172 :: v_dual_mul_f32 v50, v19, v182
	s_waitcnt vmcnt(6) lgkmcnt(2)
	v_mul_f32_e32 v89, v43, v188
	v_mul_f32_e32 v122, v49, v176
	s_waitcnt lgkmcnt(1)
	v_mul_f32_e32 v126, v55, v174
	v_fma_f32 v132, v55, v173, -v39
	v_mul_f32_e32 v39, v30, v184
	v_fmac_f32_e32 v111, v37, v171
	s_delay_alu instid0(VALU_DEP_4)
	v_dual_fmac_f32 v89, v18, v187 :: v_dual_fmac_f32 v126, v35, v173
	v_mul_f32_e32 v35, v34, v178
	s_waitcnt lgkmcnt(0)
	v_dual_mul_f32 v149, v41, v180 :: v_dual_fmac_f32 v122, v36, v175
	ds_load_2addr_b32 v[36:37], v142 offset0:76 offset1:125
	v_fma_f32 v86, v95, v154, -v86
	v_fma_f32 v150, v54, v177, -v35
	v_mul_f32_e32 v35, v31, v180
	v_fmac_f32_e32 v149, v31, v179
	v_mul_f32_e32 v31, v44, v182
	s_delay_alu instid0(VALU_DEP_3)
	v_fma_f32 v152, v41, v179, -v35
	v_mul_f32_e32 v41, v33, v186
	v_fma_f32 v128, v49, v175, -v48
	ds_load_2addr_b32 v[48:49], v134 offset0:114 offset1:163
	v_fmac_f32_e32 v31, v19, v181
	s_waitcnt vmcnt(5)
	v_dual_mul_f32 v19, v18, v188 :: v_dual_mul_f32 v18, v32, v190
	s_delay_alu instid0(VALU_DEP_1)
	v_fma_f32 v94, v43, v187, -v19
	s_waitcnt vmcnt(4)
	v_mul_f32_e32 v43, v27, v194
	s_waitcnt lgkmcnt(1)
	v_mul_f32_e32 v100, v36, v190
	v_fma_f32 v95, v37, v185, -v41
	v_mul_f32_e32 v19, v29, v192
	v_mul_f32_e32 v41, v28, v196
	v_fma_f32 v35, v44, v181, -v50
	s_waitcnt lgkmcnt(0)
	v_dual_fmac_f32 v100, v32, v189 :: v_dual_mul_f32 v101, v49, v192
	v_dual_mul_f32 v148, v54, v178 :: v_dual_mul_f32 v121, v48, v196
	v_fma_f32 v117, v49, v191, -v19
	v_fma_f32 v129, v48, v195, -v41
	s_delay_alu instid0(VALU_DEP_3) | instskip(NEXT) | instid1(VALU_DEP_4)
	v_dual_fmac_f32 v101, v29, v191 :: v_dual_fmac_f32 v148, v34, v177
	v_fmac_f32_e32 v121, v28, v195
	v_mul_f32_e32 v34, v40, v184
	s_delay_alu instid0(VALU_DEP_1)
	v_fmac_f32_e32 v34, v30, v183
	v_fma_f32 v30, v40, v183, -v39
	ds_load_2addr_b32 v[39:40], v115 offset0:106 offset1:155
	s_waitcnt lgkmcnt(0)
	v_mul_f32_e32 v123, v40, v194
	v_mul_f32_e32 v92, v37, v186
	v_fma_f32 v130, v40, v193, -v43
	s_delay_alu instid0(VALU_DEP_3) | instskip(NEXT) | instid1(VALU_DEP_3)
	v_fmac_f32_e32 v123, v27, v193
	v_fmac_f32_e32 v92, v33, v185
	ds_load_2addr_b32 v[32:33], v134 offset0:16 offset1:65
	s_waitcnt vmcnt(2)
	v_mul_f32_e32 v27, v22, v204
	s_waitcnt lgkmcnt(0)
	v_mul_f32_e32 v151, v32, v204
	v_dual_mul_f32 v137, v33, v200 :: v_dual_mul_f32 v136, v39, v198
	s_delay_alu instid0(VALU_DEP_3) | instskip(NEXT) | instid1(VALU_DEP_3)
	v_fma_f32 v154, v32, v203, -v27
	v_fmac_f32_e32 v151, v22, v203
	s_delay_alu instid0(VALU_DEP_3)
	v_fmac_f32_e32 v137, v23, v199
	v_fma_f32 v108, v36, v189, -v18
	ds_load_2addr_b32 v[36:37], v145 offset0:136 offset1:185
	ds_load_2addr_b32 v[18:19], v145 offset0:38 offset1:87
	;; [unrolled: 1-line block ×3, first 2 shown]
	v_fmac_f32_e32 v136, v26, v197
	v_mul_f32_e32 v22, v21, v202
	ds_load_2addr_b32 v[56:57], v141 offset0:98 offset1:147
	ds_load_2addr_b32 v[54:55], v141 offset0:196 offset1:245
	s_waitcnt lgkmcnt(4)
	v_mul_f32_e32 v153, v37, v202
	v_mul_f32_e32 v44, v26, v198
	s_waitcnt vmcnt(1)
	v_dual_mul_f32 v26, v23, v200 :: v_dual_mul_f32 v157, v36, v1
	v_mul_f32_e32 v23, v20, v1
	v_fmac_f32_e32 v153, v21, v201
	s_waitcnt vmcnt(0) lgkmcnt(2)
	v_mul_f32_e32 v21, v28, v7
	v_dual_mul_f32 v1, v19, v5 :: v_dual_mul_f32 v158, v29, v3
	v_fmac_f32_e32 v157, v20, v0
	v_fma_f32 v160, v36, v0, -v23
	s_delay_alu instid0(VALU_DEP_4)
	v_dual_mul_f32 v0, v17, v3 :: v_dual_fmac_f32 v21, v16, v6
	v_mul_f32_e32 v3, v16, v7
	v_mul_f32_e32 v5, v9, v5
	v_fma_f32 v155, v37, v201, -v22
	v_fma_f32 v139, v33, v199, -v26
	v_add_f32_e32 v16, v21, v47
	v_fmac_f32_e32 v1, v9, v4
	v_fma_f32 v4, v19, v4, -v5
	v_and_b32_e32 v9, 0xffff, v164
	v_fma_f32 v3, v28, v6, -v3
	v_add_f32_e32 v6, v31, v34
	s_delay_alu instid0(VALU_DEP_4) | instskip(NEXT) | instid1(VALU_DEP_4)
	v_dual_add_f32 v7, v1, v46 :: v_dual_sub_f32 v22, v4, v45
	v_mul_u32_u24_e32 v5, 0xc4, v9
	v_dual_sub_f32 v19, v30, v35 :: v_dual_fmac_f32 v158, v17, v2
	s_delay_alu instid0(VALU_DEP_3)
	v_add_f32_e32 v20, v16, v7
	v_fma_f32 v164, v29, v2, -v0
	v_lshlrev_b32_e32 v29, 2, v159
	v_fma_f32 v138, v39, v197, -v44
	v_sub_f32_e32 v40, v1, v46
	v_dual_add_f32 v20, v6, v20 :: v_dual_add_f32 v39, v3, v42
	s_delay_alu instid0(VALU_DEP_1) | instskip(SKIP_1) | instid1(VALU_DEP_2)
	v_dual_sub_f32 v21, v21, v47 :: v_dual_add_f32 v14, v14, v20
	v_dual_sub_f32 v23, v7, v6 :: v_dual_sub_f32 v6, v6, v16
	v_dual_fmamk_f32 v20, v20, 0xbf955555, v14 :: v_dual_sub_f32 v9, v3, v42
	s_delay_alu instid0(VALU_DEP_2) | instskip(NEXT) | instid1(VALU_DEP_2)
	v_mul_f32_e32 v28, 0x3f4a47b2, v23
	v_dual_sub_f32 v26, v19, v9 :: v_dual_lshlrev_b32 v23, 2, v163
	s_delay_alu instid0(VALU_DEP_2) | instskip(NEXT) | instid1(VALU_DEP_2)
	v_fmamk_f32 v32, v6, 0x3d64c772, v28
	v_add3_u32 v163, 0, v5, v23
	v_dual_sub_f32 v2, v9, v22 :: v_dual_sub_f32 v5, v16, v7
	v_mul_f32_e32 v6, 0x3d64c772, v6
	v_dual_mul_f32 v26, 0x3f08b237, v26 :: v_dual_add_f32 v27, v19, v9
	v_dual_sub_f32 v19, v22, v19 :: v_dual_add_f32 v0, v32, v20
	s_delay_alu instid0(VALU_DEP_4) | instskip(NEXT) | instid1(VALU_DEP_3)
	v_dual_mul_f32 v7, 0xbf5ff5aa, v2 :: v_dual_add_f32 v16, v158, v125
	v_add_f32_e32 v27, v27, v22
	s_delay_alu instid0(VALU_DEP_3) | instskip(SKIP_4) | instid1(VALU_DEP_4)
	v_fmamk_f32 v33, v19, 0xbeae86e6, v26
	v_fma_f32 v6, 0x3f3bfb3b, v5, -v6
	v_fma_f32 v5, 0xbf3bfb3b, v5, -v28
	;; [unrolled: 1-line block ×4, first 2 shown]
	v_dual_fmac_f32 v33, 0xbee1c552, v27 :: v_dual_add_f32 v6, v6, v20
	s_delay_alu instid0(VALU_DEP_3) | instskip(SKIP_1) | instid1(VALU_DEP_3)
	v_dual_add_f32 v5, v5, v20 :: v_dual_fmac_f32 v2, 0xbee1c552, v27
	v_dual_add_f32 v9, v157, v127 :: v_dual_add_f32 v26, v148, v149
	v_add_f32_e32 v17, v33, v0
	ds_load_2addr_b32 v[22:23], v141 offset1:49
	s_waitcnt lgkmcnt(0)
	s_barrier
	v_dual_fmac_f32 v7, 0xbee1c552, v27 :: v_dual_sub_f32 v20, v6, v2
	v_add_f32_e32 v2, v2, v6
	buffer_gl0_inv
	ds_store_2addr_b32 v163, v14, v17 offset1:7
	v_sub_f32_e32 v14, v152, v150
	v_add_f32_e32 v27, v16, v9
	v_add_f32_e32 v19, v7, v5
	v_sub_f32_e32 v5, v5, v7
	v_sub_f32_e32 v7, v164, v131
	v_add_f32_e32 v131, v164, v131
	v_add_f32_e32 v6, v26, v27
	ds_store_2addr_b32 v163, v19, v20 offset0:14 offset1:21
	ds_store_2addr_b32 v163, v2, v5 offset0:28 offset1:35
	v_sub_f32_e32 v0, v0, v33
	v_and_b32_e32 v2, 0xffff, v161
	v_sub_f32_e32 v125, v158, v125
	v_add_f32_e32 v5, v15, v6
	v_dual_sub_f32 v15, v9, v26 :: v_dual_sub_f32 v26, v26, v16
	v_lshlrev_b32_e32 v17, 2, v162
	v_mul_u32_u24_e32 v2, 0xc4, v2
	s_delay_alu instid0(VALU_DEP_4) | instskip(NEXT) | instid1(VALU_DEP_4)
	v_fmamk_f32 v6, v6, 0xbf955555, v5
	v_mul_f32_e32 v15, 0x3f4a47b2, v15
	v_dual_sub_f32 v19, v160, v133 :: v_dual_sub_f32 v20, v14, v7
	ds_store_b32 v163, v0 offset:168
	v_add3_u32 v161, 0, v2, v17
	v_fmamk_f32 v28, v26, 0x3d64c772, v15
	v_dual_add_f32 v27, v14, v7 :: v_dual_sub_f32 v14, v19, v14
	v_dual_mul_f32 v20, 0x3f08b237, v20 :: v_dual_sub_f32 v7, v7, v19
	v_dual_sub_f32 v9, v16, v9 :: v_dual_mul_f32 v16, 0x3d64c772, v26
	s_delay_alu instid0(VALU_DEP_3) | instskip(NEXT) | instid1(VALU_DEP_3)
	v_add_f32_e32 v19, v27, v19
	v_dual_add_f32 v27, v28, v6 :: v_dual_mul_f32 v26, 0xbf5ff5aa, v7
	s_delay_alu instid0(VALU_DEP_4) | instskip(NEXT) | instid1(VALU_DEP_4)
	v_fmamk_f32 v28, v14, 0xbeae86e6, v20
	v_fma_f32 v16, 0x3f3bfb3b, v9, -v16
	v_fma_f32 v9, 0xbf3bfb3b, v9, -v15
	;; [unrolled: 1-line block ×4, first 2 shown]
	s_delay_alu instid0(VALU_DEP_4) | instskip(NEXT) | instid1(VALU_DEP_3)
	v_dual_fmac_f32 v28, 0xbee1c552, v19 :: v_dual_add_f32 v15, v16, v6
	v_dual_add_f32 v6, v9, v6 :: v_dual_fmac_f32 v7, 0xbee1c552, v19
	s_delay_alu instid0(VALU_DEP_3) | instskip(SKIP_1) | instid1(VALU_DEP_4)
	v_fmac_f32_e32 v14, 0xbee1c552, v19
	v_dual_add_f32 v16, v153, v104 :: v_dual_add_f32 v17, v151, v103
	v_add_f32_e32 v0, v28, v27
	s_delay_alu instid0(VALU_DEP_3)
	v_dual_sub_f32 v9, v15, v7 :: v_dual_add_f32 v2, v14, v6
	v_dual_add_f32 v7, v7, v15 :: v_dual_sub_f32 v6, v6, v14
	ds_store_2addr_b32 v161, v5, v0 offset1:7
	v_dual_add_f32 v0, v126, v122 :: v_dual_add_f32 v5, v17, v16
	ds_store_2addr_b32 v161, v2, v9 offset0:14 offset1:21
	ds_store_2addr_b32 v161, v7, v6 offset0:28 offset1:35
	v_sub_f32_e32 v2, v154, v113
	v_dual_sub_f32 v6, v128, v132 :: v_dual_sub_f32 v9, v155, v110
	v_sub_f32_e32 v7, v16, v0
	v_and_b32_e32 v19, 0xffff, v156
	s_delay_alu instid0(VALU_DEP_3) | instskip(SKIP_1) | instid1(VALU_DEP_4)
	v_dual_add_f32 v133, v160, v133 :: v_dual_sub_f32 v14, v6, v2
	v_add_f32_e32 v15, v6, v2
	v_mul_f32_e32 v7, 0x3f4a47b2, v7
	v_add_f32_e32 v5, v0, v5
	v_sub_f32_e32 v0, v0, v17
	s_delay_alu instid0(VALU_DEP_4) | instskip(SKIP_1) | instid1(VALU_DEP_4)
	v_dual_sub_f32 v6, v9, v6 :: v_dual_add_f32 v15, v15, v9
	v_mul_f32_e32 v14, 0x3f08b237, v14
	v_add_f32_e32 v12, v12, v5
	s_delay_alu instid0(VALU_DEP_4) | instskip(SKIP_1) | instid1(VALU_DEP_4)
	v_fmamk_f32 v20, v0, 0x3d64c772, v7
	v_dual_sub_f32 v2, v2, v9 :: v_dual_sub_f32 v9, v17, v16
	v_fmamk_f32 v26, v6, 0xbeae86e6, v14
	s_delay_alu instid0(VALU_DEP_4) | instskip(SKIP_1) | instid1(VALU_DEP_4)
	v_fmamk_f32 v5, v5, 0xbf955555, v12
	v_mul_f32_e32 v0, 0x3d64c772, v0
	v_mul_f32_e32 v17, 0xbf5ff5aa, v2
	v_mul_u32_u24_e32 v19, 0xc4, v19
	v_fma_f32 v7, 0xbf3bfb3b, v9, -v7
	v_add_f32_e32 v20, v20, v5
	v_fma_f32 v0, 0x3f3bfb3b, v9, -v0
	v_fma_f32 v6, 0x3eae86e6, v6, -v17
	v_dual_add_f32 v9, v136, v88 :: v_dual_fmac_f32 v26, 0xbee1c552, v15
	v_add3_u32 v156, 0, v19, v29
	v_fma_f32 v2, 0xbf5ff5aa, v2, -v14
	v_add_f32_e32 v14, v137, v87
	v_fmac_f32_e32 v6, 0xbee1c552, v15
	v_add_f32_e32 v0, v0, v5
	v_add_f32_e32 v5, v7, v5
	;; [unrolled: 1-line block ×3, first 2 shown]
	v_dual_sub_f32 v16, v27, v28 :: v_dual_add_f32 v17, v14, v9
	v_add_f32_e32 v7, v105, v111
	v_fmac_f32_e32 v2, 0xbee1c552, v15
	ds_store_b32 v161, v16 offset:168
	ds_store_2addr_b32 v156, v12, v19 offset1:7
	v_lshlrev_b32_e32 v27, 2, v99
	v_add_f32_e32 v15, v7, v17
	v_dual_add_f32 v12, v6, v5 :: v_dual_sub_f32 v17, v120, v112
	v_sub_f32_e32 v5, v5, v6
	v_sub_f32_e32 v19, v9, v7
	s_delay_alu instid0(VALU_DEP_4) | instskip(SKIP_4) | instid1(VALU_DEP_4)
	v_dual_add_f32 v6, v13, v15 :: v_dual_sub_f32 v7, v7, v14
	v_sub_f32_e32 v13, v139, v90
	v_sub_f32_e32 v16, v0, v2
	v_add_f32_e32 v0, v2, v0
	v_and_b32_e32 v2, 0xffff, v51
	v_dual_mul_f32 v19, 0x3f4a47b2, v19 :: v_dual_add_f32 v32, v17, v13
	v_dual_sub_f32 v29, v17, v13 :: v_dual_sub_f32 v28, v138, v91
	v_sub_f32_e32 v9, v14, v9
	s_delay_alu instid0(VALU_DEP_3) | instskip(SKIP_1) | instid1(VALU_DEP_4)
	v_fmamk_f32 v33, v7, 0x3d64c772, v19
	v_mul_u32_u24_e32 v2, 0xc4, v2
	v_mul_f32_e32 v29, 0x3f08b237, v29
	v_dual_fmamk_f32 v15, v15, 0xbf955555, v6 :: v_dual_add_f32 v14, v32, v28
	v_sub_f32_e32 v17, v28, v17
	v_sub_f32_e32 v13, v13, v28
	v_add3_u32 v159, 0, v2, v27
	s_delay_alu instid0(VALU_DEP_4) | instskip(SKIP_4) | instid1(VALU_DEP_3)
	v_add_f32_e32 v32, v33, v15
	v_sub_f32_e32 v127, v157, v127
	v_dual_fmamk_f32 v33, v17, 0xbeae86e6, v29 :: v_dual_add_f32 v150, v150, v152
	v_add_f32_e32 v152, v131, v133
	v_dual_sub_f32 v103, v151, v103 :: v_dual_sub_f32 v104, v153, v104
	v_fmac_f32_e32 v33, 0xbee1c552, v14
	s_delay_alu instid0(VALU_DEP_3) | instskip(SKIP_1) | instid1(VALU_DEP_3)
	v_dual_mul_f32 v7, 0x3d64c772, v7 :: v_dual_add_f32 v152, v150, v152
	v_dual_add_f32 v90, v139, v90 :: v_dual_sub_f32 v87, v137, v87
	v_add_f32_e32 v2, v33, v32
	s_delay_alu instid0(VALU_DEP_3)
	v_fma_f32 v7, 0x3f3bfb3b, v9, -v7
	v_mul_f32_e32 v28, 0xbf5ff5aa, v13
	v_fma_f32 v9, 0xbf3bfb3b, v9, -v19
	v_fma_f32 v13, 0xbf5ff5aa, v13, -v29
	v_add_f32_e32 v23, v23, v152
	v_add_f32_e32 v7, v7, v15
	v_fma_f32 v17, 0x3eae86e6, v17, -v28
	v_add_f32_e32 v9, v9, v15
	v_fmac_f32_e32 v13, 0xbee1c552, v14
	v_dual_add_f32 v91, v138, v91 :: v_dual_add_f32 v112, v112, v120
	s_delay_alu instid0(VALU_DEP_4) | instskip(NEXT) | instid1(VALU_DEP_3)
	v_fmac_f32_e32 v17, 0xbee1c552, v14
	v_dual_sub_f32 v14, v20, v26 :: v_dual_sub_f32 v19, v7, v13
	v_sub_f32_e32 v88, v136, v88
	s_delay_alu instid0(VALU_DEP_3)
	v_dual_add_f32 v120, v90, v91 :: v_dual_add_f32 v15, v17, v9
	ds_store_2addr_b32 v156, v12, v16 offset0:14 offset1:21
	ds_store_2addr_b32 v156, v0, v5 offset0:28 offset1:35
	ds_store_b32 v156, v14 offset:168
	ds_store_2addr_b32 v159, v6, v2 offset1:7
	ds_store_2addr_b32 v159, v15, v19 offset0:14 offset1:21
	v_and_b32_e32 v2, 0xffff, v38
	v_lshlrev_b32_e32 v12, 2, v119
	v_add_f32_e32 v0, v13, v7
	v_add_f32_e32 v38, v4, v45
	v_sub_f32_e32 v105, v111, v105
	v_mul_u32_u24_e32 v2, 0xc4, v2
	v_sub_f32_e32 v111, v90, v91
	v_sub_f32_e32 v91, v91, v112
	v_sub_f32_e32 v171, v39, v38
	s_delay_alu instid0(VALU_DEP_4)
	v_add3_u32 v119, 0, v2, v12
	v_sub_f32_e32 v2, v129, v83
	v_sub_f32_e32 v5, v9, v17
	v_add_f32_e32 v9, v121, v79
	v_dual_mul_f32 v91, 0x3f4a47b2, v91 :: v_dual_sub_f32 v90, v112, v90
	v_add_f32_e32 v112, v112, v120
	ds_store_2addr_b32 v159, v0, v5 offset0:28 offset1:35
	v_add_f32_e32 v0, v96, v93
	v_dual_sub_f32 v6, v32, v33 :: v_dual_add_f32 v7, v123, v80
	v_add_f32_e32 v120, v105, v87
	v_dual_sub_f32 v80, v123, v80 :: v_dual_add_f32 v83, v129, v83
	ds_store_b32 v159, v6 offset:168
	v_dual_sub_f32 v6, v97, v98 :: v_dual_add_f32 v97, v98, v97
	v_sub_f32_e32 v12, v7, v0
	s_delay_alu instid0(VALU_DEP_2) | instskip(NEXT) | instid1(VALU_DEP_2)
	v_dual_sub_f32 v14, v6, v2 :: v_dual_add_f32 v5, v9, v7
	v_dual_mul_f32 v12, 0x3f4a47b2, v12 :: v_dual_sub_f32 v13, v130, v85
	v_add_f32_e32 v15, v6, v2
	s_delay_alu instid0(VALU_DEP_3) | instskip(NEXT) | instid1(VALU_DEP_3)
	v_dual_mul_f32 v14, 0x3f08b237, v14 :: v_dual_add_f32 v5, v0, v5
	v_dual_add_f32 v85, v130, v85 :: v_dual_sub_f32 v6, v13, v6
	v_sub_f32_e32 v79, v121, v79
	s_delay_alu instid0(VALU_DEP_3) | instskip(NEXT) | instid1(VALU_DEP_3)
	v_dual_sub_f32 v93, v93, v96 :: v_dual_add_f32 v10, v10, v5
	v_sub_f32_e32 v96, v83, v85
	v_sub_f32_e32 v0, v0, v9
	v_add_f32_e32 v98, v83, v85
	v_sub_f32_e32 v85, v85, v97
	s_delay_alu instid0(VALU_DEP_3) | instskip(SKIP_3) | instid1(VALU_DEP_3)
	v_dual_sub_f32 v83, v97, v83 :: v_dual_fmamk_f32 v16, v0, 0x3d64c772, v12
	v_dual_fmamk_f32 v5, v5, 0xbf955555, v10 :: v_dual_sub_f32 v2, v2, v13
	v_dual_sub_f32 v7, v9, v7 :: v_dual_mul_f32 v0, 0x3d64c772, v0
	v_add_f32_e32 v9, v15, v13
	v_dual_add_f32 v16, v16, v5 :: v_dual_fmamk_f32 v15, v6, 0xbeae86e6, v14
	v_add_f32_e32 v97, v97, v98
	s_delay_alu instid0(VALU_DEP_4)
	v_fma_f32 v0, 0x3f3bfb3b, v7, -v0
	v_mul_f32_e32 v13, 0xbf5ff5aa, v2
	v_fma_f32 v7, 0xbf3bfb3b, v7, -v12
	v_fma_f32 v2, 0xbf5ff5aa, v2, -v14
	v_add_f32_e32 v12, v101, v74
	v_add_f32_e32 v0, v0, v5
	v_fma_f32 v6, 0x3eae86e6, v6, -v13
	v_add_f32_e32 v5, v7, v5
	v_dual_add_f32 v7, v100, v75 :: v_dual_fmac_f32 v2, 0xbee1c552, v9
	v_add_f32_e32 v14, v81, v82
	s_delay_alu instid0(VALU_DEP_4) | instskip(SKIP_1) | instid1(VALU_DEP_4)
	v_fmac_f32_e32 v6, 0xbee1c552, v9
	v_fmac_f32_e32 v15, 0xbee1c552, v9
	v_add_f32_e32 v17, v12, v7
	v_dual_sub_f32 v19, v0, v2 :: v_dual_add_f32 v0, v2, v0
	s_delay_alu instid0(VALU_DEP_4) | instskip(NEXT) | instid1(VALU_DEP_4)
	v_dual_add_f32 v13, v6, v5 :: v_dual_sub_f32 v2, v5, v6
	v_add_f32_e32 v9, v15, v16
	s_delay_alu instid0(VALU_DEP_4)
	v_dual_add_f32 v5, v14, v17 :: v_dual_and_b32 v6, 0xffff, v118
	v_add_f32_e32 v98, v93, v79
	v_add_f32_e32 v54, v54, v97
	ds_store_2addr_b32 v119, v10, v9 offset1:7
	ds_store_2addr_b32 v119, v13, v19 offset0:14 offset1:21
	ds_store_2addr_b32 v119, v0, v2 offset0:28 offset1:35
	v_sub_f32_e32 v0, v16, v15
	v_add_f32_e32 v2, v11, v5
	v_mul_u32_u24_e32 v6, 0xc4, v6
	v_dual_sub_f32 v10, v117, v78 :: v_dual_lshlrev_b32 v9, 2, v124
	v_sub_f32_e32 v11, v86, v84
	ds_store_b32 v119, v0 offset:168
	v_sub_f32_e32 v0, v7, v14
	v_add3_u32 v118, 0, v6, v9
	v_dual_sub_f32 v6, v108, v77 :: v_dual_sub_f32 v9, v11, v10
	v_dual_sub_f32 v13, v14, v12 :: v_dual_add_f32 v14, v11, v10
	s_delay_alu instid0(VALU_DEP_2) | instskip(NEXT) | instid1(VALU_DEP_3)
	v_dual_mul_f32 v0, 0x3f4a47b2, v0 :: v_dual_sub_f32 v11, v6, v11
	v_dual_mul_f32 v9, 0x3f08b237, v9 :: v_dual_sub_f32 v10, v10, v6
	s_delay_alu instid0(VALU_DEP_3) | instskip(NEXT) | instid1(VALU_DEP_4)
	v_dual_sub_f32 v7, v12, v7 :: v_dual_mul_f32 v12, 0x3d64c772, v13
	v_dual_fmamk_f32 v5, v5, 0xbf955555, v2 :: v_dual_add_f32 v6, v14, v6
	s_delay_alu instid0(VALU_DEP_3) | instskip(NEXT) | instid1(VALU_DEP_4)
	v_fmamk_f32 v14, v11, 0xbeae86e6, v9
	v_fma_f32 v9, 0xbf5ff5aa, v10, -v9
	s_delay_alu instid0(VALU_DEP_4)
	v_fma_f32 v12, 0x3f3bfb3b, v7, -v12
	v_fmamk_f32 v15, v13, 0x3d64c772, v0
	v_fma_f32 v0, 0xbf3bfb3b, v7, -v0
	v_mul_f32_e32 v13, 0xbf5ff5aa, v10
	v_fmac_f32_e32 v14, 0xbee1c552, v6
	v_add_f32_e32 v10, v12, v5
	v_add_f32_e32 v15, v15, v5
	;; [unrolled: 1-line block ×3, first 2 shown]
	v_fma_f32 v7, 0x3eae86e6, v11, -v13
	v_fmac_f32_e32 v9, 0xbee1c552, v6
	v_add_f32_e32 v13, v72, v71
	v_dual_add_f32 v77, v108, v77 :: v_dual_add_f32 v78, v117, v78
	s_delay_alu instid0(VALU_DEP_4) | instskip(SKIP_3) | instid1(VALU_DEP_4)
	v_dual_fmac_f32 v7, 0xbee1c552, v6 :: v_dual_add_f32 v6, v14, v15
	v_add_f32_e32 v5, v92, v59
	v_add_f32_e32 v11, v89, v58
	;; [unrolled: 1-line block ×4, first 2 shown]
	v_sub_f32_e32 v0, v0, v7
	ds_store_2addr_b32 v118, v2, v6 offset1:7
	v_add_f32_e32 v16, v11, v5
	v_dual_sub_f32 v6, v15, v14 :: v_dual_sub_f32 v17, v10, v9
	v_add_f32_e32 v9, v9, v10
	s_delay_alu instid0(VALU_DEP_3)
	v_dual_sub_f32 v81, v82, v81 :: v_dual_add_f32 v2, v13, v16
	ds_store_2addr_b32 v118, v12, v17 offset0:14 offset1:21
	ds_store_2addr_b32 v118, v9, v0 offset0:28 offset1:35
	ds_store_b32 v118, v6 offset:168
	v_dual_sub_f32 v6, v94, v60 :: v_dual_add_f32 v7, v8, v2
	v_sub_f32_e32 v8, v73, v76
	v_sub_f32_e32 v10, v5, v13
	v_dual_sub_f32 v13, v13, v11 :: v_dual_and_b32 v0, 0xffff, v102
	s_delay_alu instid0(VALU_DEP_3) | instskip(SKIP_1) | instid1(VALU_DEP_4)
	v_dual_sub_f32 v14, v8, v6 :: v_dual_lshlrev_b32 v9, 2, v109
	v_add_f32_e32 v15, v8, v6
	v_mul_f32_e32 v10, 0x3f4a47b2, v10
	s_delay_alu instid0(VALU_DEP_4) | instskip(SKIP_1) | instid1(VALU_DEP_3)
	v_mul_u32_u24_e32 v0, 0xc4, v0
	v_dual_fmamk_f32 v2, v2, 0xbf955555, v7 :: v_dual_sub_f32 v5, v11, v5
	v_dual_mul_f32 v11, 0x3d64c772, v13 :: v_dual_fmamk_f32 v16, v13, 0x3d64c772, v10
	v_sub_f32_e32 v12, v95, v61
	s_delay_alu instid0(VALU_DEP_4) | instskip(SKIP_1) | instid1(VALU_DEP_4)
	v_add3_u32 v102, 0, v0, v9
	v_mul_f32_e32 v14, 0x3f08b237, v14
	v_fma_f32 v11, 0x3f3bfb3b, v5, -v11
	v_add_f32_e32 v9, v16, v2
	v_sub_f32_e32 v8, v12, v8
	v_add_f32_e32 v15, v15, v12
	v_fma_f32 v5, 0xbf3bfb3b, v5, -v10
	v_add_f32_e32 v10, v11, v2
	v_sub_f32_e32 v82, v78, v77
	v_add_f32_e32 v86, v78, v77
	v_sub_f32_e32 v74, v101, v74
	;; [unrolled: 2-line block ×3, first 2 shown]
	v_dual_sub_f32 v77, v77, v84 :: v_dual_sub_f32 v78, v84, v78
	v_add_f32_e32 v84, v84, v86
	s_delay_alu instid0(VALU_DEP_3) | instskip(SKIP_1) | instid1(VALU_DEP_3)
	v_dual_sub_f32 v75, v100, v75 :: v_dual_mul_f32 v0, 0xbf5ff5aa, v6
	v_dual_add_f32 v60, v94, v60 :: v_dual_add_f32 v73, v76, v73
	v_add_f32_e32 v55, v55, v84
	v_add_f32_e32 v61, v95, v61
	s_delay_alu instid0(VALU_DEP_4) | instskip(SKIP_1) | instid1(VALU_DEP_4)
	v_fma_f32 v0, 0x3eae86e6, v8, -v0
	v_dual_sub_f32 v58, v89, v58 :: v_dual_sub_f32 v71, v71, v72
	v_fmamk_f32 v84, v84, 0xbf955555, v55
	v_add_f32_e32 v86, v81, v74
	s_delay_alu instid0(VALU_DEP_4) | instskip(SKIP_3) | instid1(VALU_DEP_4)
	v_fmac_f32_e32 v0, 0xbee1c552, v15
	v_mul_f32_e32 v77, 0x3f4a47b2, v77
	v_add_f32_e32 v76, v60, v61
	v_sub_f32_e32 v72, v60, v61
	v_dual_sub_f32 v60, v73, v60 :: v_dual_add_f32 v3, v0, v2
	v_fma_f32 v6, 0xbf5ff5aa, v6, -v14
	v_sub_f32_e32 v61, v61, v73
	s_delay_alu instid0(VALU_DEP_2) | instskip(SKIP_1) | instid1(VALU_DEP_2)
	v_dual_add_f32 v73, v73, v76 :: v_dual_fmac_f32 v6, 0xbee1c552, v15
	v_fmamk_f32 v12, v8, 0xbeae86e6, v14
	v_dual_add_f32 v18, v18, v73 :: v_dual_sub_f32 v59, v92, v59
	v_add_f32_e32 v76, v71, v58
	s_delay_alu instid0(VALU_DEP_3) | instskip(SKIP_2) | instid1(VALU_DEP_1)
	v_dual_add_f32 v5, v6, v10 :: v_dual_fmac_f32 v12, 0xbee1c552, v15
	v_sub_f32_e32 v4, v10, v6
	v_add_f32_e32 v6, v35, v30
	v_dual_add_f32 v8, v12, v9 :: v_dual_sub_f32 v41, v6, v39
	ds_store_2addr_b32 v102, v7, v8 offset1:7
	v_dual_add_f32 v7, v39, v38 :: v_dual_mul_f32 v172, 0x3d64c772, v41
	s_delay_alu instid0(VALU_DEP_1) | instskip(SKIP_1) | instid1(VALU_DEP_2)
	v_add_f32_e32 v1, v6, v7
	v_sub_f32_e32 v7, v38, v6
	v_add_f32_e32 v124, v22, v1
	s_delay_alu instid0(VALU_DEP_2) | instskip(NEXT) | instid1(VALU_DEP_2)
	v_mul_f32_e32 v162, 0x3f4a47b2, v7
	v_fmamk_f32 v167, v1, 0xbf955555, v124
	s_delay_alu instid0(VALU_DEP_2) | instskip(SKIP_1) | instid1(VALU_DEP_2)
	v_dual_fmamk_f32 v1, v41, 0x3d64c772, v162 :: v_dual_sub_f32 v0, v2, v0
	v_fma_f32 v162, 0xbf3bfb3b, v171, -v162
	v_add_f32_e32 v169, v1, v167
	v_sub_f32_e32 v148, v149, v148
	v_sub_f32_e32 v170, v21, v40
	v_dual_sub_f32 v2, v34, v31 :: v_dual_sub_f32 v149, v133, v150
	v_fma_f32 v172, 0x3f3bfb3b, v171, -v172
	s_delay_alu instid0(VALU_DEP_3) | instskip(NEXT) | instid1(VALU_DEP_3)
	v_dual_sub_f32 v150, v150, v131 :: v_dual_mul_f32 v173, 0xbf5ff5aa, v170
	v_dual_add_f32 v8, v2, v21 :: v_dual_sub_f32 v109, v40, v2
	v_sub_f32_e32 v131, v131, v133
	v_add_f32_e32 v133, v148, v125
	v_sub_f32_e32 v157, v148, v125
	s_delay_alu instid0(VALU_DEP_4) | instskip(SKIP_3) | instid1(VALU_DEP_3)
	v_add_f32_e32 v166, v8, v40
	v_sub_f32_e32 v6, v2, v21
	v_dual_sub_f32 v2, v9, v12 :: v_dual_mul_f32 v149, 0x3f4a47b2, v149
	v_sub_f32_e32 v125, v125, v127
	v_dual_add_f32 v162, v162, v167 :: v_dual_mul_f32 v165, 0x3f08b237, v6
	v_sub_f32_e32 v148, v127, v148
	v_dual_mul_f32 v158, 0x3d64c772, v150 :: v_dual_add_f32 v127, v133, v127
	v_fmamk_f32 v133, v150, 0x3d64c772, v149
	s_delay_alu instid0(VALU_DEP_4)
	v_fmamk_f32 v168, v109, 0xbeae86e6, v165
	v_fma_f32 v165, 0xbf5ff5aa, v170, -v165
	v_add_f32_e32 v170, v172, v167
	v_mul_f32_e32 v150, 0x3f08b237, v157
	v_mul_f32_e32 v157, 0xbf5ff5aa, v125
	v_fmac_f32_e32 v168, 0xbee1c552, v166
	v_fma_f32 v109, 0x3eae86e6, v109, -v173
	v_fma_f32 v158, 0x3f3bfb3b, v131, -v158
	;; [unrolled: 1-line block ×4, first 2 shown]
	s_delay_alu instid0(VALU_DEP_4)
	v_dual_sub_f32 v160, v169, v168 :: v_dual_fmac_f32 v109, 0xbee1c552, v166
	v_fmac_f32_e32 v165, 0xbee1c552, v166
	v_fma_f32 v125, 0xbf5ff5aa, v125, -v150
	v_fmamk_f32 v148, v148, 0xbeae86e6, v150
	v_fmac_f32_e32 v149, 0xbee1c552, v127
	v_fmamk_f32 v152, v152, 0xbf955555, v23
	v_sub_f32_e32 v164, v162, v109
	v_dual_add_f32 v166, v165, v170 :: v_dual_fmac_f32 v125, 0xbee1c552, v127
	s_delay_alu instid0(VALU_DEP_3)
	v_dual_fmac_f32 v148, 0xbee1c552, v127 :: v_dual_add_f32 v133, v133, v152
	v_add_f32_e32 v150, v158, v152
	ds_store_2addr_b32 v102, v3, v4 offset0:14 offset1:21
	ds_store_2addr_b32 v102, v5, v0 offset0:28 offset1:35
	ds_store_b32 v102, v2 offset:168
	s_waitcnt lgkmcnt(0)
	s_barrier
	buffer_gl0_inv
	ds_load_b32 v99, v141 offset:9408
	ds_load_2addr_b32 v[6:7], v141 offset1:49
	ds_load_2addr_b32 v[0:1], v145 offset0:38 offset1:87
	ds_load_2addr_b32 v[10:11], v142 offset0:174 offset1:223
	;; [unrolled: 1-line block ×23, first 2 shown]
	s_waitcnt lgkmcnt(0)
	s_barrier
	buffer_gl0_inv
	v_add_f32_e32 v109, v109, v162
	ds_store_2addr_b32 v163, v124, v160 offset1:7
	ds_store_2addr_b32 v163, v164, v166 offset0:14 offset1:21
	v_dual_sub_f32 v124, v170, v165 :: v_dual_add_f32 v131, v131, v152
	v_dual_add_f32 v127, v168, v169 :: v_dual_add_f32 v152, v125, v150
	v_dual_sub_f32 v125, v150, v125 :: v_dual_sub_f32 v150, v133, v148
	s_delay_alu instid0(VALU_DEP_3)
	v_sub_f32_e32 v157, v131, v149
	v_add_f32_e32 v131, v149, v131
	ds_store_2addr_b32 v163, v124, v109 offset0:28 offset1:35
	ds_store_b32 v163, v127 offset:168
	ds_store_2addr_b32 v161, v23, v150 offset1:7
	ds_store_2addr_b32 v161, v157, v152 offset0:14 offset1:21
	ds_store_2addr_b32 v161, v125, v131 offset0:28 offset1:35
	v_add_f32_e32 v23, v155, v110
	v_add_f32_e32 v109, v154, v113
	v_dual_add_f32 v113, v132, v128 :: v_dual_sub_f32 v122, v122, v126
	s_delay_alu instid0(VALU_DEP_2) | instskip(SKIP_1) | instid1(VALU_DEP_3)
	v_add_f32_e32 v124, v109, v23
	v_dual_add_f32 v110, v148, v133 :: v_dual_sub_f32 v125, v109, v23
	v_sub_f32_e32 v23, v23, v113
	v_sub_f32_e32 v109, v113, v109
	s_delay_alu instid0(VALU_DEP_4) | instskip(NEXT) | instid1(VALU_DEP_3)
	v_add_f32_e32 v113, v113, v124
	v_mul_f32_e32 v23, 0x3f4a47b2, v23
	v_add_f32_e32 v124, v122, v103
	s_delay_alu instid0(VALU_DEP_3) | instskip(SKIP_1) | instid1(VALU_DEP_2)
	v_add_f32_e32 v56, v56, v113
	v_dual_sub_f32 v126, v122, v103 :: v_dual_sub_f32 v103, v103, v104
	v_fmamk_f32 v113, v113, 0xbf955555, v56
	s_delay_alu instid0(VALU_DEP_2) | instskip(NEXT) | instid1(VALU_DEP_3)
	v_mul_f32_e32 v126, 0x3f08b237, v126
	v_mul_f32_e32 v127, 0xbf5ff5aa, v103
	s_delay_alu instid0(VALU_DEP_2) | instskip(SKIP_4) | instid1(VALU_DEP_2)
	v_fma_f32 v103, 0xbf5ff5aa, v103, -v126
	v_sub_f32_e32 v122, v104, v122
	v_add_f32_e32 v104, v124, v104
	v_dual_mul_f32 v124, 0x3d64c772, v109 :: v_dual_fmamk_f32 v109, v109, 0x3d64c772, v23
	v_fma_f32 v23, 0xbf3bfb3b, v125, -v23
	v_fma_f32 v124, 0x3f3bfb3b, v125, -v124
	s_delay_alu instid0(VALU_DEP_3) | instskip(NEXT) | instid1(VALU_DEP_3)
	v_add_f32_e32 v109, v109, v113
	v_add_f32_e32 v23, v23, v113
	v_fmac_f32_e32 v103, 0xbee1c552, v104
	v_fma_f32 v125, 0x3eae86e6, v122, -v127
	v_add_f32_e32 v124, v124, v113
	v_fmamk_f32 v122, v122, 0xbeae86e6, v126
	s_delay_alu instid0(VALU_DEP_3) | instskip(NEXT) | instid1(VALU_DEP_1)
	v_fmac_f32_e32 v125, 0xbee1c552, v104
	v_dual_fmac_f32 v122, 0xbee1c552, v104 :: v_dual_sub_f32 v113, v23, v125
	s_delay_alu instid0(VALU_DEP_4) | instskip(NEXT) | instid1(VALU_DEP_2)
	v_dual_add_f32 v104, v103, v124 :: v_dual_sub_f32 v103, v124, v103
	v_dual_sub_f32 v124, v109, v122 :: v_dual_add_f32 v109, v122, v109
	v_dual_sub_f32 v122, v105, v87 :: v_dual_sub_f32 v87, v87, v88
	v_add_f32_e32 v23, v125, v23
	v_sub_f32_e32 v105, v88, v105
	ds_store_b32 v161, v110 offset:168
	ds_store_2addr_b32 v156, v56, v124 offset1:7
	ds_store_2addr_b32 v156, v113, v104 offset0:14 offset1:21
	v_mul_f32_e32 v122, 0x3f08b237, v122
	v_dual_add_f32 v88, v120, v88 :: v_dual_mul_f32 v125, 0xbf5ff5aa, v87
	v_dual_mul_f32 v120, 0x3d64c772, v90 :: v_dual_add_f32 v57, v57, v112
	v_mul_lo_u16 v56, 0x4f, v70
	s_delay_alu instid0(VALU_DEP_2) | instskip(NEXT) | instid1(VALU_DEP_3)
	v_fma_f32 v120, 0x3f3bfb3b, v111, -v120
	v_fmamk_f32 v112, v112, 0xbf955555, v57
	s_delay_alu instid0(VALU_DEP_1) | instskip(SKIP_3) | instid1(VALU_DEP_2)
	v_add_f32_e32 v120, v120, v112
	v_fmamk_f32 v90, v90, 0x3d64c772, v91
	v_fma_f32 v91, 0xbf3bfb3b, v111, -v91
	v_fma_f32 v111, 0x3eae86e6, v105, -v125
	v_add_f32_e32 v91, v91, v112
	v_fma_f32 v87, 0xbf5ff5aa, v87, -v122
	v_fmamk_f32 v105, v105, 0xbeae86e6, v122
	s_delay_alu instid0(VALU_DEP_2) | instskip(NEXT) | instid1(VALU_DEP_2)
	v_fmac_f32_e32 v87, 0xbee1c552, v88
	v_fmac_f32_e32 v105, 0xbee1c552, v88
	;; [unrolled: 1-line block ×3, first 2 shown]
	s_delay_alu instid0(VALU_DEP_3) | instskip(SKIP_1) | instid1(VALU_DEP_3)
	v_dual_add_f32 v88, v87, v120 :: v_dual_sub_f32 v87, v120, v87
	v_add_f32_e32 v90, v90, v112
	v_sub_f32_e32 v112, v91, v111
	v_add_f32_e32 v91, v111, v91
	s_delay_alu instid0(VALU_DEP_3)
	v_dual_sub_f32 v111, v90, v105 :: v_dual_add_f32 v90, v105, v90
	v_sub_f32_e32 v105, v93, v79
	v_sub_f32_e32 v93, v80, v93
	;; [unrolled: 1-line block ×3, first 2 shown]
	v_add_f32_e32 v80, v98, v80
	v_mul_f32_e32 v98, 0x3d64c772, v83
	v_fmamk_f32 v97, v97, 0xbf955555, v54
	ds_store_2addr_b32 v156, v103, v23 offset0:28 offset1:35
	ds_store_b32 v156, v109 offset:168
	ds_store_2addr_b32 v159, v57, v111 offset1:7
	ds_store_2addr_b32 v159, v112, v88 offset0:14 offset1:21
	v_mul_f32_e32 v120, 0xbf5ff5aa, v79
	v_lshrrev_b16 v23, 8, v56
	v_fma_f32 v98, 0x3f3bfb3b, v96, -v98
	v_mul_lo_u16 v56, 0x4f, v65
	s_delay_alu instid0(VALU_DEP_2) | instskip(SKIP_1) | instid1(VALU_DEP_1)
	v_add_f32_e32 v98, v98, v97
	v_mul_f32_e32 v105, 0x3f08b237, v105
	v_fma_f32 v79, 0xbf5ff5aa, v79, -v105
	s_delay_alu instid0(VALU_DEP_1) | instskip(SKIP_1) | instid1(VALU_DEP_1)
	v_fmac_f32_e32 v79, 0xbee1c552, v80
	v_mul_f32_e32 v85, 0x3f4a47b2, v85
	v_fmamk_f32 v83, v83, 0x3d64c772, v85
	v_fma_f32 v85, 0xbf3bfb3b, v96, -v85
	s_delay_alu instid0(VALU_DEP_2) | instskip(NEXT) | instid1(VALU_DEP_2)
	v_add_f32_e32 v83, v83, v97
	v_add_f32_e32 v85, v85, v97
	v_fma_f32 v96, 0x3eae86e6, v93, -v120
	v_fmamk_f32 v93, v93, 0xbeae86e6, v105
	s_delay_alu instid0(VALU_DEP_2) | instskip(NEXT) | instid1(VALU_DEP_2)
	v_fmac_f32_e32 v96, 0xbee1c552, v80
	v_dual_fmac_f32 v93, 0xbee1c552, v80 :: v_dual_add_f32 v80, v79, v98
	v_sub_f32_e32 v79, v98, v79
	s_delay_alu instid0(VALU_DEP_3) | instskip(SKIP_1) | instid1(VALU_DEP_4)
	v_sub_f32_e32 v97, v85, v96
	v_add_f32_e32 v85, v96, v85
	v_dual_sub_f32 v96, v83, v93 :: v_dual_add_f32 v83, v93, v83
	v_dual_sub_f32 v93, v81, v74 :: v_dual_sub_f32 v74, v74, v75
	ds_store_2addr_b32 v159, v87, v91 offset0:28 offset1:35
	ds_store_b32 v159, v90 offset:168
	ds_store_2addr_b32 v119, v54, v96 offset1:7
	ds_store_2addr_b32 v119, v97, v80 offset0:14 offset1:21
	v_sub_nc_u16 v54, v69, v23
	v_dual_mul_f32 v98, 0xbf5ff5aa, v74 :: v_dual_sub_f32 v81, v75, v81
	v_dual_add_f32 v75, v86, v75 :: v_dual_mul_f32 v86, 0x3d64c772, v78
	v_fmamk_f32 v78, v78, 0x3d64c772, v77
	ds_store_2addr_b32 v119, v79, v85 offset0:28 offset1:35
	ds_store_b32 v119, v83 offset:168
	v_lshrrev_b16 v54, 1, v54
	v_fma_f32 v86, 0x3f3bfb3b, v82, -v86
	v_add_f32_e32 v78, v78, v84
	v_fma_f32 v77, 0xbf3bfb3b, v82, -v77
	v_fma_f32 v82, 0x3eae86e6, v81, -v98
	v_and_b32_e32 v54, 0x7f, v54
	v_dual_add_f32 v86, v86, v84 :: v_dual_mul_f32 v93, 0x3f08b237, v93
	s_delay_alu instid0(VALU_DEP_3) | instskip(NEXT) | instid1(VALU_DEP_3)
	v_dual_add_f32 v77, v77, v84 :: v_dual_fmac_f32 v82, 0xbee1c552, v75
	v_add_nc_u16 v23, v54, v23
	v_mul_lo_u16 v54, 0x4f, v66
	s_delay_alu instid0(VALU_DEP_4)
	v_fma_f32 v74, 0xbf5ff5aa, v74, -v93
	v_fmamk_f32 v81, v81, 0xbeae86e6, v93
	v_sub_f32_e32 v84, v77, v82
	v_lshrrev_b16 v23, 5, v23
	v_lshrrev_b16 v54, 8, v54
	v_fmac_f32_e32 v74, 0xbee1c552, v75
	v_fmac_f32_e32 v81, 0xbee1c552, v75
	v_add_f32_e32 v77, v82, v77
	v_mul_lo_u16 v23, v23, 49
	v_sub_nc_u16 v57, v63, v54
	v_add_f32_e32 v75, v74, v86
	v_sub_f32_e32 v82, v78, v81
	v_add_f32_e32 v78, v81, v78
	v_dual_sub_f32 v81, v71, v58 :: v_dual_sub_f32 v58, v58, v59
	v_sub_f32_e32 v71, v59, v71
	v_dual_add_f32 v59, v76, v59 :: v_dual_mul_f32 v76, 0x3d64c772, v60
	v_dual_mul_f32 v61, 0x3f4a47b2, v61 :: v_dual_sub_f32 v74, v86, v74
	ds_store_2addr_b32 v118, v55, v82 offset1:7
	v_lshrrev_b16 v55, 8, v56
	v_fma_f32 v76, 0x3f3bfb3b, v72, -v76
	v_fmamk_f32 v60, v60, 0x3d64c772, v61
	v_mul_u32_u24_e32 v56, 6, v140
	v_fmamk_f32 v73, v73, 0xbf955555, v18
	v_mul_f32_e32 v86, 0xbf5ff5aa, v58
	v_fma_f32 v61, 0xbf3bfb3b, v72, -v61
	v_sub_nc_u16 v23, v69, v23
	v_lshlrev_b32_e32 v92, 3, v56
	v_add_f32_e32 v76, v76, v73
	v_add_f32_e32 v60, v60, v73
	v_mul_f32_e32 v81, 0x3f08b237, v81
	v_fma_f32 v72, 0x3eae86e6, v71, -v86
	v_add_f32_e32 v61, v61, v73
	ds_store_2addr_b32 v118, v84, v75 offset0:14 offset1:21
	ds_store_2addr_b32 v118, v74, v77 offset0:28 offset1:35
	ds_store_b32 v118, v78 offset:168
	v_fmamk_f32 v71, v71, 0xbeae86e6, v81
	v_fmac_f32_e32 v72, 0xbee1c552, v59
	v_and_b32_e32 v66, 0xff, v23
	s_delay_alu instid0(VALU_DEP_3) | instskip(NEXT) | instid1(VALU_DEP_3)
	v_fmac_f32_e32 v71, 0xbee1c552, v59
	v_sub_f32_e32 v73, v61, v72
	v_add_f32_e32 v61, v72, v61
	s_delay_alu instid0(VALU_DEP_3) | instskip(SKIP_2) | instid1(VALU_DEP_2)
	v_sub_f32_e32 v72, v60, v71
	v_fma_f32 v58, 0xbf5ff5aa, v58, -v81
	v_add_f32_e32 v60, v71, v60
	v_fmac_f32_e32 v58, 0xbee1c552, v59
	s_delay_alu instid0(VALU_DEP_1)
	v_dual_add_f32 v59, v58, v76 :: v_dual_sub_f32 v58, v76, v58
	ds_store_2addr_b32 v102, v18, v72 offset1:7
	ds_store_2addr_b32 v102, v73, v59 offset0:14 offset1:21
	ds_store_b32 v102, v60 offset:168
	ds_store_2addr_b32 v102, v58, v61 offset0:28 offset1:35
	s_waitcnt lgkmcnt(0)
	s_barrier
	buffer_gl0_inv
	global_load_b128 v[69:72], v92, s[8:9] offset:368
	v_sub_nc_u16 v18, v62, v55
	v_mul_u32_u24_e32 v58, 0x4e5f, v67
	s_delay_alu instid0(VALU_DEP_2) | instskip(NEXT) | instid1(VALU_DEP_2)
	v_lshrrev_b16 v18, 1, v18
	v_lshrrev_b32_e32 v56, 16, v58
	v_mul_u32_u24_e32 v58, 0x4e5f, v68
	s_delay_alu instid0(VALU_DEP_3) | instskip(NEXT) | instid1(VALU_DEP_1)
	v_and_b32_e32 v18, 0x7f, v18
	v_add_nc_u16 v18, v18, v55
	v_lshrrev_b16 v55, 1, v57
	v_sub_nc_u16 v57, v64, v56
	s_delay_alu instid0(VALU_DEP_3) | instskip(NEXT) | instid1(VALU_DEP_3)
	v_lshrrev_b16 v18, 5, v18
	v_and_b32_e32 v55, 0x7f, v55
	s_delay_alu instid0(VALU_DEP_2) | instskip(NEXT) | instid1(VALU_DEP_2)
	v_mul_lo_u16 v18, v18, 49
	v_add_nc_u16 v23, v55, v54
	v_lshrrev_b16 v54, 1, v57
	v_lshrrev_b32_e32 v55, 16, v58
	v_mul_u32_u24_e32 v57, 6, v66
	v_sub_nc_u16 v18, v62, v18
	v_lshrrev_b16 v23, 5, v23
	v_add_nc_u16 v54, v54, v56
	v_sub_nc_u16 v56, v135, v55
	v_lshlrev_b32_e32 v58, 3, v57
	v_and_b32_e32 v65, 0xff, v18
	v_mul_lo_u16 v18, v23, 49
	v_lshrrev_b16 v23, 5, v54
	v_lshrrev_b16 v54, 1, v56
	global_load_b128 v[73:76], v58, s[8:9] offset:368
	v_mul_u32_u24_e32 v56, 6, v65
	v_sub_nc_u16 v18, v63, v18
	v_mul_lo_u16 v23, v23, 49
	v_add_nc_u16 v54, v54, v55
	s_delay_alu instid0(VALU_DEP_4) | instskip(NEXT) | instid1(VALU_DEP_4)
	v_lshlrev_b32_e32 v55, 3, v56
	v_and_b32_e32 v62, 0xff, v18
	s_delay_alu instid0(VALU_DEP_4) | instskip(NEXT) | instid1(VALU_DEP_4)
	v_sub_nc_u16 v18, v64, v23
	v_lshrrev_b16 v23, 5, v54
	global_load_b128 v[77:80], v55, s[8:9] offset:368
	v_mul_u32_u24_e32 v54, 6, v62
	v_and_b32_e32 v57, 0xffff, v18
	v_mul_lo_u16 v18, v23, 49
	s_delay_alu instid0(VALU_DEP_3) | instskip(NEXT) | instid1(VALU_DEP_3)
	v_lshlrev_b32_e32 v23, 3, v54
	v_mul_u32_u24_e32 v54, 6, v57
	s_delay_alu instid0(VALU_DEP_3) | instskip(SKIP_4) | instid1(VALU_DEP_1)
	v_sub_nc_u16 v18, v135, v18
	global_load_b128 v[81:84], v23, s[8:9] offset:368
	v_lshlrev_b32_e32 v54, 3, v54
	global_load_b128 v[85:88], v54, s[8:9] offset:368
	v_and_b32_e32 v56, 0xffff, v18
	v_mul_u32_u24_e32 v18, 6, v56
	s_waitcnt vmcnt(4)
	s_delay_alu instid0(VALU_DEP_1)
	v_dual_mul_f32 v61, v51, v72 :: v_dual_lshlrev_b32 v18, 3, v18
	s_clause 0xc
	global_load_b128 v[93:96], v18, s[8:9] offset:352
	global_load_b128 v[100:103], v18, s[8:9] offset:368
	;; [unrolled: 1-line block ×13, first 2 shown]
	ds_load_2addr_b32 v[54:55], v144 offset0:10 offset1:59
	ds_load_2addr_b32 v[63:64], v114 offset0:130 offset1:179
	;; [unrolled: 1-line block ×4, first 2 shown]
	v_mul_f32_e32 v23, v50, v72
	ds_load_2addr_b32 v[97:98], v116 offset0:70 offset1:119
	s_waitcnt lgkmcnt(4)
	v_mul_f32_e32 v59, v54, v72
	v_mul_f32_e32 v121, v55, v72
	v_fma_f32 v60, v54, v71, -v23
	v_fma_f32 v125, v55, v71, -v61
	ds_load_2addr_b32 v[54:55], v144 offset0:206 offset1:255
	v_dual_mul_f32 v18, v37, v70 :: v_dual_fmac_f32 v59, v50, v71
	v_mul_f32_e32 v23, v48, v70
	s_waitcnt lgkmcnt(4)
	v_dual_mul_f32 v58, v64, v70 :: v_dual_fmac_f32 v121, v51, v71
	s_delay_alu instid0(VALU_DEP_3)
	v_fma_f32 v61, v64, v69, -v18
	s_waitcnt lgkmcnt(3)
	v_mul_f32_e32 v122, v67, v70
	ds_load_2addr_b32 v[71:72], v114 offset0:32 offset1:81
	v_fmac_f32_e32 v58, v37, v69
	s_waitcnt vmcnt(16) lgkmcnt(3)
	v_mul_f32_e32 v113, v89, v76
	v_mul_f32_e32 v18, v49, v74
	;; [unrolled: 1-line block ×3, first 2 shown]
	s_delay_alu instid0(VALU_DEP_3) | instskip(NEXT) | instid1(VALU_DEP_2)
	v_dual_fmac_f32 v122, v48, v69 :: v_dual_fmac_f32 v113, v46, v75
	v_fmac_f32_e32 v112, v49, v73
	s_waitcnt vmcnt(15) lgkmcnt(2)
	v_dual_mul_f32 v108, v97, v78 :: v_dual_mul_f32 v109, v90, v80
	s_delay_alu instid0(VALU_DEP_1) | instskip(NEXT) | instid1(VALU_DEP_1)
	v_dual_mul_f32 v37, v47, v80 :: v_dual_fmac_f32 v108, v44, v77
	v_fma_f32 v111, v90, v79, -v37
	s_waitcnt vmcnt(14) lgkmcnt(1)
	v_mul_f32_e32 v50, v54, v84
	v_fma_f32 v127, v67, v69, -v23
	v_mul_f32_e32 v23, v46, v76
	v_fma_f32 v117, v68, v73, -v18
	ds_load_2addr_b32 v[67:68], v116 offset0:168 offset1:217
	v_mul_f32_e32 v49, v98, v82
	ds_load_2addr_b32 v[69:70], v107 offset0:122 offset1:171
	v_mul_f32_e32 v18, v44, v78
	s_waitcnt vmcnt(13)
	v_mul_f32_e32 v44, v55, v88
	v_fma_f32 v119, v89, v75, -v23
	v_mul_f32_e32 v23, v42, v84
	v_dual_fmac_f32 v49, v45, v81 :: v_dual_fmac_f32 v50, v42, v83
	ds_load_b32 v42, v141 offset:9408
	v_fmac_f32_e32 v109, v47, v79
	v_fma_f32 v110, v97, v77, -v18
	v_mul_f32_e32 v18, v45, v82
	v_fmac_f32_e32 v44, v43, v87
	v_fma_f32 v54, v54, v83, -v23
	v_mul_f32_e32 v37, v40, v86
	ds_load_2addr_b32 v[73:74], v147 offset0:152 offset1:201
	v_fma_f32 v51, v98, v81, -v18
	ds_load_2addr_b32 v[75:76], v134 offset0:114 offset1:163
	s_waitcnt vmcnt(12)
	v_mul_f32_e32 v18, v63, v96
	v_mul_f32_e32 v23, v43, v88
	s_waitcnt lgkmcnt(4)
	v_mul_f32_e32 v43, v67, v86
	v_fma_f32 v46, v67, v85, -v37
	v_mul_f32_e32 v37, v36, v96
	v_fmac_f32_e32 v18, v36, v95
	v_fma_f32 v45, v55, v87, -v23
	s_waitcnt vmcnt(11)
	v_mul_f32_e32 v36, v68, v101
	v_dual_fmac_f32 v43, v40, v85 :: v_dual_mul_f32 v40, v39, v94
	s_waitcnt lgkmcnt(3)
	v_mul_f32_e32 v23, v70, v94
	s_waitcnt vmcnt(10)
	v_dual_mul_f32 v47, v41, v101 :: v_dual_mul_f32 v48, v72, v131
	v_dual_fmac_f32 v36, v41, v100 :: v_dual_mul_f32 v55, v99, v103
	s_delay_alu instid0(VALU_DEP_3)
	v_fmac_f32_e32 v23, v39, v93
	v_fma_f32 v39, v70, v93, -v40
	s_waitcnt lgkmcnt(2)
	v_mul_f32_e32 v40, v42, v103
	v_fma_f32 v37, v63, v95, -v37
	ds_load_2addr_b32 v[63:64], v143 offset0:190 offset1:239
	v_fma_f32 v41, v68, v100, -v47
	v_dual_mul_f32 v47, v69, v129 :: v_dual_fmac_f32 v40, v99, v102
	v_dual_mul_f32 v67, v38, v129 :: v_dual_fmac_f32 v48, v35, v130
	s_waitcnt vmcnt(9) lgkmcnt(2)
	v_mul_f32_e32 v93, v74, v137
	s_waitcnt vmcnt(8)
	v_dual_fmac_f32 v47, v38, v128 :: v_dual_mul_f32 v118, v73, v149
	v_mul_f32_e32 v35, v35, v131
	v_fma_f32 v38, v69, v128, -v67
	ds_load_2addr_b32 v[67:68], v147 offset0:54 offset1:103
	v_mul_f32_e32 v70, v33, v137
	v_fmac_f32_e32 v118, v32, v148
	v_fma_f32 v42, v42, v102, -v55
	v_fma_f32 v35, v72, v130, -v35
	v_dual_mul_f32 v72, v31, v151 :: v_dual_fmac_f32 v93, v33, v136
	v_fma_f32 v33, v74, v136, -v70
	s_waitcnt vmcnt(3) lgkmcnt(2)
	v_mul_f32_e32 v123, v75, v171
	s_waitcnt lgkmcnt(1)
	v_mul_f32_e32 v120, v64, v151
	v_mul_f32_e32 v69, v34, v139
	;; [unrolled: 1-line block ×4, first 2 shown]
	s_delay_alu instid0(VALU_DEP_4) | instskip(SKIP_1) | instid1(VALU_DEP_4)
	v_fmac_f32_e32 v120, v31, v150
	v_fma_f32 v31, v64, v150, -v72
	v_fmac_f32_e32 v126, v30, v154
	s_delay_alu instid0(VALU_DEP_4)
	v_fmac_f32_e32 v55, v34, v138
	v_fma_f32 v34, v71, v138, -v69
	v_dual_mul_f32 v71, v32, v149 :: v_dual_mul_f32 v30, v30, v155
	ds_load_2addr_b32 v[69:70], v143 offset0:92 offset1:141
	s_waitcnt lgkmcnt(1)
	v_mul_f32_e32 v128, v68, v153
	v_mul_f32_e32 v133, v67, v157
	v_fma_f32 v32, v73, v148, -v71
	ds_load_2addr_b32 v[71:72], v106 offset0:84 offset1:133
	v_fma_f32 v129, v63, v154, -v30
	v_fmac_f32_e32 v128, v29, v152
	v_dual_mul_f32 v64, v29, v153 :: v_dual_fmac_f32 v133, v28, v156
	v_mul_f32_e32 v28, v28, v157
	ds_load_2addr_b32 v[73:74], v142 offset0:76 offset1:125
	v_fma_f32 v130, v68, v152, -v64
	s_waitcnt lgkmcnt(2)
	v_mul_f32_e32 v63, v69, v159
	v_mul_f32_e32 v136, v70, v159
	;; [unrolled: 1-line block ×3, first 2 shown]
	v_fma_f32 v137, v67, v156, -v28
	s_waitcnt lgkmcnt(1)
	v_mul_f32_e32 v67, v72, v157
	v_fmac_f32_e32 v63, v26, v158
	v_dual_mul_f32 v29, v26, v159 :: v_dual_fmac_f32 v136, v27, v158
	v_fma_f32 v138, v70, v158, -v30
	v_mul_f32_e32 v28, v9, v157
	s_waitcnt lgkmcnt(0)
	v_dual_mul_f32 v26, v71, v163 :: v_dual_mul_f32 v27, v74, v161
	v_fma_f32 v64, v69, v158, -v29
	v_mul_f32_e32 v29, v8, v163
	ds_load_2addr_b32 v[69:70], v115 offset0:106 offset1:155
	v_fma_f32 v68, v72, v156, -v28
	v_dual_fmac_f32 v67, v9, v156 :: v_dual_fmac_f32 v26, v8, v162
	v_fma_f32 v28, v71, v162, -v29
	ds_load_2addr_b32 v[71:72], v134 offset0:16 offset1:65
	v_dual_mul_f32 v8, v22, v161 :: v_dual_mul_f32 v29, v76, v167
	v_dual_fmac_f32 v27, v22, v160 :: v_dual_mul_f32 v30, v73, v165
	v_mul_f32_e32 v9, v21, v165
	s_delay_alu instid0(VALU_DEP_3) | instskip(NEXT) | instid1(VALU_DEP_4)
	v_fma_f32 v22, v74, v160, -v8
	v_dual_fmac_f32 v29, v20, v166 :: v_dual_mul_f32 v74, v17, v169
	s_delay_alu instid0(VALU_DEP_4) | instskip(NEXT) | instid1(VALU_DEP_1)
	v_dual_mul_f32 v77, v20, v167 :: v_dual_fmac_f32 v30, v21, v164
	v_fma_f32 v20, v76, v166, -v77
	s_waitcnt lgkmcnt(1)
	v_mul_f32_e32 v124, v70, v169
	s_waitcnt vmcnt(2)
	v_mul_f32_e32 v131, v69, v173
	s_delay_alu instid0(VALU_DEP_2)
	v_dual_fmac_f32 v123, v19, v170 :: v_dual_fmac_f32 v124, v17, v168
	v_fma_f32 v17, v70, v168, -v74
	v_mul_f32_e32 v70, v16, v173
	s_waitcnt vmcnt(1)
	v_dual_mul_f32 v74, v14, v179 :: v_dual_fmac_f32 v131, v16, v172
	s_waitcnt lgkmcnt(0)
	v_mul_f32_e32 v16, v72, v175
	v_fma_f32 v21, v73, v164, -v9
	ds_load_2addr_b32 v[82:83], v145 offset0:136 offset1:185
	ds_load_2addr_b32 v[8:9], v145 offset0:38 offset1:87
	ds_load_2addr_b32 v[84:85], v142 offset0:174 offset1:223
	v_mul_f32_e32 v73, v19, v171
	v_mul_f32_e32 v139, v71, v179
	v_fma_f32 v149, v71, v178, -v74
	v_fmac_f32_e32 v16, v15, v174
	s_waitcnt vmcnt(0) lgkmcnt(2)
	v_mul_f32_e32 v152, v82, v181
	v_dual_fmac_f32 v139, v14, v178 :: v_dual_mul_f32 v148, v83, v177
	v_mul_f32_e32 v14, v13, v177
	v_fma_f32 v19, v75, v170, -v73
	v_mul_f32_e32 v73, v15, v175
	v_fma_f32 v132, v69, v172, -v70
	s_waitcnt lgkmcnt(0)
	v_dual_mul_f32 v69, v9, v181 :: v_dual_mul_f32 v70, v84, v183
	v_dual_fmac_f32 v148, v13, v176 :: v_dual_mul_f32 v13, v10, v183
	v_fmac_f32_e32 v152, v12, v180
	s_delay_alu instid0(VALU_DEP_3) | instskip(SKIP_1) | instid1(VALU_DEP_4)
	v_dual_fmac_f32 v69, v1, v180 :: v_dual_fmac_f32 v70, v10, v182
	v_mul_f32_e32 v1, v1, v181
	v_fma_f32 v71, v84, v182, -v13
	v_fma_f32 v15, v72, v174, -v73
	s_delay_alu instid0(VALU_DEP_4)
	v_add_f32_e32 v10, v69, v59
	v_add_f32_e32 v74, v70, v58
	v_fma_f32 v150, v83, v176, -v14
	v_fma_f32 v72, v9, v180, -v1
	v_mul_f32_e32 v1, v85, v183
	v_sub_f32_e32 v9, v71, v61
	v_dual_mul_f32 v14, v12, v181 :: v_dual_add_f32 v13, v74, v10
	v_dual_add_f32 v12, v67, v63 :: v_dual_sub_f32 v73, v64, v68
	v_dual_add_f32 v161, v72, v60 :: v_dual_add_f32 v162, v71, v61
	s_delay_alu instid0(VALU_DEP_2) | instskip(SKIP_3) | instid1(VALU_DEP_4)
	v_dual_sub_f32 v104, v69, v59 :: v_dual_add_f32 v75, v12, v13
	v_sub_f32_e32 v78, v10, v12
	v_sub_f32_e32 v13, v72, v60
	v_dual_sub_f32 v12, v12, v74 :: v_dual_sub_f32 v79, v73, v9
	v_add_f32_e32 v76, v6, v75
	v_mul_f32_e32 v83, v11, v183
	v_dual_add_f32 v81, v73, v9 :: v_dual_mul_f32 v80, 0x3f4a47b2, v78
	v_dual_sub_f32 v77, v13, v73 :: v_dual_sub_f32 v74, v74, v10
	s_delay_alu instid0(VALU_DEP_2)
	v_dual_mul_f32 v79, 0x3f08b237, v79 :: v_dual_add_f32 v78, v81, v13
	v_fma_f32 v6, v82, v180, -v14
	v_sub_f32_e32 v82, v9, v13
	v_fma_f32 v153, v85, v182, -v83
	v_mul_f32_e32 v83, 0x3d64c772, v12
	v_add_f32_e32 v85, v133, v136
	ds_load_2addr_b32 v[13:14], v141 offset1:49
	v_mul_f32_e32 v84, 0xbf5ff5aa, v82
	ds_load_2addr_b32 v[9:10], v141 offset0:196 offset1:245
	v_fma_f32 v83, 0x3f3bfb3b, v74, -v83
	v_fma_f32 v74, 0xbf3bfb3b, v74, -v80
	v_fmamk_f32 v73, v77, 0xbeae86e6, v79
	v_fma_f32 v77, 0x3eae86e6, v77, -v84
	v_fma_f32 v79, 0xbf5ff5aa, v82, -v79
	v_sub_f32_e32 v105, v70, v58
	s_delay_alu instid0(VALU_DEP_4)
	v_dual_add_f32 v58, v162, v161 :: v_dual_fmac_f32 v73, 0xbee1c552, v78
	v_fmamk_f32 v81, v75, 0xbf955555, v76
	v_fmamk_f32 v75, v12, 0x3d64c772, v80
	v_fmac_f32_e32 v79, 0xbee1c552, v78
	v_fmac_f32_e32 v77, 0xbee1c552, v78
	v_sub_f32_e32 v133, v136, v133
	s_delay_alu instid0(VALU_DEP_4) | instskip(NEXT) | instid1(VALU_DEP_1)
	v_add_f32_e32 v75, v75, v81
	v_add_f32_e32 v78, v73, v75
	;; [unrolled: 1-line block ×3, first 2 shown]
	v_dual_fmac_f32 v1, v11, v182 :: v_dual_add_f32 v74, v74, v81
	ds_load_2addr_b32 v[11:12], v141 offset0:98 offset1:147
	s_waitcnt lgkmcnt(0)
	v_sub_f32_e32 v84, v80, v79
	v_dual_add_f32 v82, v1, v122 :: v_dual_add_f32 v81, v152, v121
	v_add_f32_e32 v83, v77, v74
	s_barrier
	buffer_gl0_inv
	ds_store_2addr_b32 v141, v76, v78 offset1:49
	ds_store_2addr_b32 v141, v83, v84 offset0:98 offset1:147
	v_sub_f32_e32 v78, v82, v81
	v_add_f32_e32 v86, v82, v81
	v_add_f32_e32 v76, v79, v80
	v_sub_f32_e32 v80, v138, v137
	v_sub_f32_e32 v83, v6, v125
	v_dual_sub_f32 v79, v153, v127 :: v_dual_sub_f32 v74, v74, v77
	v_add_f32_e32 v77, v85, v86
	v_dual_sub_f32 v82, v85, v82 :: v_dual_sub_f32 v73, v75, v73
	s_delay_alu instid0(VALU_DEP_3)
	v_dual_sub_f32 v84, v80, v79 :: v_dual_sub_f32 v81, v81, v85
	ds_store_2addr_b32 v141, v76, v74 offset0:196 offset1:245
	v_add_f32_e32 v6, v6, v125
	v_dual_sub_f32 v121, v152, v121 :: v_dual_mul_f32 v84, 0x3f08b237, v84
	v_mul_f32_e32 v81, 0x3f4a47b2, v81
	v_add_f32_e32 v7, v7, v77
	s_delay_alu instid0(VALU_DEP_2) | instskip(NEXT) | instid1(VALU_DEP_2)
	v_dual_sub_f32 v1, v1, v122 :: v_dual_fmamk_f32 v86, v82, 0x3d64c772, v81
	v_fmamk_f32 v77, v77, 0xbf955555, v7
	v_dual_add_f32 v85, v80, v79 :: v_dual_sub_f32 v80, v83, v80
	v_fma_f32 v74, 0xbf3bfb3b, v78, -v81
	v_sub_f32_e32 v79, v79, v83
	v_mul_f32_e32 v81, 0x3d64c772, v82
	s_delay_alu instid0(VALU_DEP_4) | instskip(NEXT) | instid1(VALU_DEP_3)
	v_dual_add_f32 v83, v85, v83 :: v_dual_add_f32 v82, v148, v113
	v_dual_add_f32 v74, v74, v77 :: v_dual_mul_f32 v85, 0xbf5ff5aa, v79
	v_fmamk_f32 v87, v80, 0xbeae86e6, v84
	s_delay_alu instid0(VALU_DEP_4)
	v_fma_f32 v78, 0x3f3bfb3b, v78, -v81
	v_fma_f32 v79, 0xbf5ff5aa, v79, -v84
	v_add_f32_e32 v84, v139, v112
	v_fma_f32 v76, 0x3eae86e6, v80, -v85
	v_add_f32_e32 v80, v86, v77
	v_add_f32_e32 v77, v78, v77
	v_dual_sub_f32 v78, v149, v117 :: v_dual_fmac_f32 v87, 0xbee1c552, v83
	s_delay_alu instid0(VALU_DEP_4)
	v_fmac_f32_e32 v76, 0xbee1c552, v83
	v_fmac_f32_e32 v79, 0xbee1c552, v83
	ds_store_2addr_b32 v145, v73, v7 offset0:38 offset1:87
	v_add_f32_e32 v73, v84, v82
	v_add_f32_e32 v75, v87, v80
	;; [unrolled: 1-line block ×3, first 2 shown]
	v_sub_f32_e32 v83, v150, v119
	v_dual_add_f32 v7, v128, v126 :: v_dual_sub_f32 v74, v74, v76
	v_sub_f32_e32 v112, v139, v112
	ds_store_2addr_b32 v145, v75, v81 offset0:136 offset1:185
	v_sub_f32_e32 v81, v129, v130
	v_sub_f32_e32 v75, v77, v79
	s_delay_alu instid0(VALU_DEP_2) | instskip(SKIP_2) | instid1(VALU_DEP_1)
	v_dual_sub_f32 v113, v148, v113 :: v_dual_sub_f32 v86, v81, v78
	v_add_f32_e32 v88, v81, v78
	v_dual_sub_f32 v78, v78, v83 :: v_dual_add_f32 v73, v7, v73
	v_dual_mul_f32 v86, 0x3f08b237, v86 :: v_dual_add_f32 v89, v4, v73
	s_delay_alu instid0(VALU_DEP_3)
	v_dual_add_f32 v4, v79, v77 :: v_dual_add_f32 v77, v88, v83
	ds_store_2addr_b32 v115, v75, v4 offset0:106 offset1:155
	v_sub_f32_e32 v75, v80, v87
	v_lshl_add_u32 v4, v66, 2, 0
	v_sub_f32_e32 v66, v84, v82
	v_add_f32_e32 v80, v131, v109
	v_sub_f32_e32 v109, v131, v109
	ds_store_2addr_b32 v142, v74, v75 offset0:76 offset1:125
	v_mul_f32_e32 v75, 0xbf5ff5aa, v78
	v_fma_f32 v78, 0xbf5ff5aa, v78, -v86
	v_add_nc_u32_e32 v154, 0xc00, v4
	v_fmamk_f32 v73, v73, 0xbf955555, v89
	v_add_f32_e32 v125, v153, v127
	s_delay_alu instid0(VALU_DEP_4) | instskip(SKIP_4) | instid1(VALU_DEP_4)
	v_dual_add_f32 v127, v137, v138 :: v_dual_fmac_f32 v78, 0xbee1c552, v77
	v_dual_sub_f32 v85, v82, v7 :: v_dual_add_f32 v82, v16, v108
	v_sub_f32_e32 v81, v83, v81
	v_sub_f32_e32 v7, v7, v84
	v_add_f32_e32 v137, v125, v6
	v_dual_sub_f32 v136, v125, v6 :: v_dual_add_f32 v83, v82, v80
	s_delay_alu instid0(VALU_DEP_4) | instskip(SKIP_3) | instid1(VALU_DEP_4)
	v_fmamk_f32 v88, v81, 0xbeae86e6, v86
	v_sub_f32_e32 v86, v132, v111
	v_fma_f32 v75, 0x3eae86e6, v81, -v75
	v_add_f32_e32 v81, v118, v120
	v_dual_add_f32 v111, v132, v111 :: v_dual_fmac_f32 v88, 0xbee1c552, v77
	v_add_f32_e32 v122, v127, v137
	s_delay_alu instid0(VALU_DEP_4) | instskip(SKIP_4) | instid1(VALU_DEP_4)
	v_fmac_f32_e32 v75, 0xbee1c552, v77
	v_dual_mul_f32 v85, 0x3f4a47b2, v85 :: v_dual_sub_f32 v6, v6, v127
	v_sub_f32_e32 v125, v127, v125
	v_add_f32_e32 v127, v133, v1
	v_sub_f32_e32 v137, v133, v1
	v_fmamk_f32 v79, v7, 0x3d64c772, v85
	v_dual_sub_f32 v1, v1, v121 :: v_dual_add_f32 v14, v14, v122
	v_mul_f32_e32 v6, 0x3f4a47b2, v6
	v_sub_f32_e32 v16, v16, v108
	s_delay_alu instid0(VALU_DEP_4) | instskip(SKIP_3) | instid1(VALU_DEP_4)
	v_dual_add_f32 v76, v79, v73 :: v_dual_mul_f32 v79, 0x3d64c772, v7
	v_add_nc_u32_e32 v7, 0x800, v4
	v_fmamk_f32 v122, v122, 0xbf955555, v14
	v_sub_f32_e32 v108, v120, v118
	v_add_f32_e32 v74, v88, v76
	v_fma_f32 v79, 0x3f3bfb3b, v66, -v79
	v_fma_f32 v66, 0xbf3bfb3b, v66, -v85
	v_sub_f32_e32 v59, v76, v88
	v_sub_f32_e32 v118, v108, v16
	ds_store_2addr_b32 v7, v89, v74 offset0:174 offset1:223
	v_add_f32_e32 v74, v81, v83
	v_add_f32_e32 v66, v66, v73
	;; [unrolled: 1-line block ×3, first 2 shown]
	v_sub_f32_e32 v79, v15, v110
	v_dual_sub_f32 v83, v31, v32 :: v_dual_mul_f32 v118, 0x3f08b237, v118
	s_delay_alu instid0(VALU_DEP_4) | instskip(NEXT) | instid1(VALU_DEP_4)
	v_add_f32_e32 v77, v75, v66
	v_dual_sub_f32 v84, v73, v78 :: v_dual_add_f32 v73, v78, v73
	s_delay_alu instid0(VALU_DEP_3)
	v_sub_f32_e32 v87, v83, v79
	v_add_f32_e32 v89, v83, v79
	v_sub_f32_e32 v83, v86, v83
	ds_store_2addr_b32 v154, v77, v84 offset0:16 offset1:65
	v_sub_f32_e32 v77, v79, v86
	v_sub_f32_e32 v84, v17, v54
	;; [unrolled: 1-line block ×3, first 2 shown]
	v_mul_f32_e32 v87, 0x3f08b237, v87
	v_add_f32_e32 v79, v124, v50
	v_add_f32_e32 v85, v5, v74
	;; [unrolled: 1-line block ×3, first 2 shown]
	ds_store_2addr_b32 v154, v73, v66 offset0:114 offset1:163
	v_mul_f32_e32 v73, 0xbf5ff5aa, v77
	v_fmamk_f32 v91, v83, 0xbeae86e6, v87
	v_fma_f32 v77, 0xbf5ff5aa, v77, -v87
	v_add_f32_e32 v17, v17, v54
	v_sub_f32_e32 v50, v124, v50
	v_fma_f32 v73, 0x3eae86e6, v83, -v73
	v_sub_f32_e32 v83, v34, v33
	v_sub_f32_e32 v5, v80, v81
	;; [unrolled: 1-line block ×3, first 2 shown]
	v_fmac_f32_e32 v91, 0xbee1c552, v89
	v_fmac_f32_e32 v73, 0xbee1c552, v89
	;; [unrolled: 1-line block ×3, first 2 shown]
	v_mul_f32_e32 v90, 0x3f4a47b2, v5
	v_dual_mul_f32 v78, 0x3d64c772, v81 :: v_dual_add_f32 v33, v33, v34
	v_sub_f32_e32 v34, v123, v49
	v_sub_f32_e32 v133, v121, v133
	s_delay_alu instid0(VALU_DEP_4) | instskip(SKIP_3) | instid1(VALU_DEP_3)
	v_fmamk_f32 v5, v81, 0x3d64c772, v90
	v_add_f32_e32 v81, v93, v55
	v_add_f32_e32 v121, v127, v121
	v_mul_f32_e32 v152, 0xbf5ff5aa, v1
	v_sub_f32_e32 v86, v79, v81
	v_fmamk_f32 v74, v74, 0xbf955555, v85
	s_delay_alu instid0(VALU_DEP_2) | instskip(NEXT) | instid1(VALU_DEP_2)
	v_mul_f32_e32 v86, 0x3f4a47b2, v86
	v_add_f32_e32 v75, v5, v74
	v_lshl_add_u32 v5, v65, 2, 0
	v_dual_sub_f32 v65, v82, v80 :: v_dual_add_f32 v80, v123, v49
	s_delay_alu instid0(VALU_DEP_2) | instskip(NEXT) | instid1(VALU_DEP_2)
	v_dual_add_f32 v66, v91, v75 :: v_dual_add_nc_u32 v155, 0x1000, v5
	v_fma_f32 v78, 0x3f3bfb3b, v65, -v78
	s_delay_alu instid0(VALU_DEP_3)
	v_add_f32_e32 v82, v80, v79
	v_fma_f32 v65, 0xbf3bfb3b, v65, -v90
	ds_store_2addr_b32 v155, v85, v66 offset0:5 offset1:54
	v_add_f32_e32 v78, v78, v74
	v_add_f32_e32 v82, v81, v82
	v_dual_add_f32 v65, v65, v74 :: v_dual_sub_f32 v74, v19, v51
	v_sub_f32_e32 v81, v81, v80
	s_delay_alu instid0(VALU_DEP_4) | instskip(NEXT) | instid1(VALU_DEP_4)
	v_sub_f32_e32 v85, v78, v77
	v_add_f32_e32 v94, v2, v82
	s_delay_alu instid0(VALU_DEP_4) | instskip(NEXT) | instid1(VALU_DEP_4)
	v_dual_add_f32 v66, v73, v65 :: v_dual_sub_f32 v87, v83, v74
	v_fmamk_f32 v2, v81, 0x3d64c772, v86
	v_add_f32_e32 v90, v83, v74
	s_delay_alu instid0(VALU_DEP_4) | instskip(NEXT) | instid1(VALU_DEP_4)
	v_dual_fmamk_f32 v82, v82, 0xbf955555, v94 :: v_dual_sub_f32 v83, v84, v83
	v_mul_f32_e32 v87, 0x3f08b237, v87
	v_sub_f32_e32 v65, v65, v73
	s_delay_alu instid0(VALU_DEP_4) | instskip(NEXT) | instid1(VALU_DEP_4)
	v_add_f32_e32 v89, v90, v84
	v_add_f32_e32 v95, v2, v82
	v_lshl_add_u32 v2, v62, 2, 0
	v_add_f32_e32 v62, v77, v78
	v_dual_fmamk_f32 v90, v83, 0xbeae86e6, v87 :: v_dual_sub_f32 v73, v74, v84
	v_dual_add_f32 v74, v30, v44 :: v_dual_add_f32 v77, v29, v43
	ds_store_2addr_b32 v155, v62, v65 offset0:201 offset1:250
	v_dual_sub_f32 v62, v80, v79 :: v_dual_mul_f32 v65, 0x3d64c772, v81
	v_sub_f32_e32 v80, v20, v46
	v_dual_sub_f32 v81, v35, v38 :: v_dual_fmac_f32 v90, 0xbee1c552, v89
	ds_store_2addr_b32 v155, v66, v85 offset0:103 offset1:152
	v_sub_f32_e32 v84, v21, v45
	v_dual_sub_f32 v85, v81, v80 :: v_dual_add_nc_u32 v156, 0x1400, v2
	v_add_f32_e32 v66, v90, v95
	v_fma_f32 v65, 0x3f3bfb3b, v62, -v65
	v_fma_f32 v62, 0xbf3bfb3b, v62, -v86
	v_dual_add_f32 v78, v47, v48 :: v_dual_add_f32 v79, v77, v74
	v_dual_add_f32 v86, v81, v80 :: v_dual_sub_f32 v81, v84, v81
	v_mul_f32_e32 v85, 0x3f08b237, v85
	ds_store_2addr_b32 v156, v94, v66 offset0:92 offset1:141
	v_dual_mul_f32 v66, 0xbf5ff5aa, v73 :: v_dual_add_f32 v79, v78, v79
	v_add_f32_e32 v86, v86, v84
	v_fmamk_f32 v94, v81, 0xbeae86e6, v85
	v_fma_f32 v73, 0xbf5ff5aa, v73, -v87
	v_add_f32_e32 v65, v65, v82
	v_add_f32_e32 v62, v62, v82
	v_dual_sub_f32 v60, v75, v91 :: v_dual_add_nc_u32 v157, 0x1800, v2
	v_fmac_f32_e32 v94, 0xbee1c552, v86
	v_fma_f32 v66, 0x3eae86e6, v83, -v66
	v_add_f32_e32 v83, v3, v79
	v_sub_f32_e32 v3, v74, v78
	v_fmac_f32_e32 v73, 0xbee1c552, v89
	v_sub_f32_e32 v78, v78, v77
	v_fmac_f32_e32 v66, 0xbee1c552, v89
	v_fmamk_f32 v79, v79, 0xbf955555, v83
	v_mul_f32_e32 v87, 0x3f4a47b2, v3
	v_sub_f32_e32 v3, v65, v73
	s_delay_alu instid0(VALU_DEP_4) | instskip(SKIP_1) | instid1(VALU_DEP_4)
	v_dual_add_f32 v65, v73, v65 :: v_dual_add_f32 v82, v66, v62
	v_sub_f32_e32 v73, v80, v84
	v_fmamk_f32 v89, v78, 0x3d64c772, v87
	v_sub_f32_e32 v62, v62, v66
	v_add_f32_e32 v80, v27, v40
	ds_store_2addr_b32 v156, v82, v3 offset0:190 offset1:239
	v_lshl_add_u32 v3, v57, 2, 0
	v_add_f32_e32 v66, v89, v79
	v_sub_f32_e32 v57, v77, v74
	v_mul_f32_e32 v74, 0x3d64c772, v78
	v_mul_f32_e32 v77, 0xbf5ff5aa, v73
	v_add_nc_u32_e32 v158, 0x1800, v3
	v_add_f32_e32 v78, v94, v66
	v_fma_f32 v73, 0xbf5ff5aa, v73, -v85
	v_fma_f32 v74, 0x3f3bfb3b, v57, -v74
	v_fma_f32 v57, 0xbf3bfb3b, v57, -v87
	v_fma_f32 v77, 0x3eae86e6, v81, -v77
	v_add_f32_e32 v81, v26, v36
	ds_store_2addr_b32 v157, v65, v62 offset0:32 offset1:81
	ds_store_2addr_b32 v158, v83, v78 offset0:179 offset1:228
	v_add_f32_e32 v74, v74, v79
	v_add_f32_e32 v57, v57, v79
	v_dual_add_f32 v79, v23, v18 :: v_dual_add_f32 v82, v81, v80
	v_sub_f32_e32 v83, v37, v39
	v_sub_f32_e32 v85, v22, v42
	v_fmac_f32_e32 v77, 0xbee1c552, v86
	v_fmac_f32_e32 v73, 0xbee1c552, v86
	v_dual_add_f32 v65, v79, v82 :: v_dual_sub_f32 v82, v28, v41
	v_add_f32_e32 v19, v19, v51
	v_sub_f32_e32 v51, v55, v93
	s_delay_alu instid0(VALU_DEP_4) | instskip(NEXT) | instid1(VALU_DEP_4)
	v_sub_f32_e32 v78, v74, v73
	v_add_f32_e32 v84, v0, v65
	v_sub_f32_e32 v0, v80, v79
	v_sub_f32_e32 v86, v83, v82
	v_add_f32_e32 v87, v83, v82
	v_sub_f32_e32 v83, v85, v83
	s_delay_alu instid0(VALU_DEP_4) | instskip(NEXT) | instid1(VALU_DEP_4)
	v_dual_sub_f32 v79, v79, v81 :: v_dual_mul_f32 v0, 0x3f4a47b2, v0
	v_mul_f32_e32 v86, 0x3f08b237, v86
	v_sub_f32_e32 v82, v82, v85
	v_add_f32_e32 v49, v19, v17
	v_add_f32_e32 v87, v87, v85
	v_fmamk_f32 v65, v65, 0xbf955555, v84
	v_fmamk_f32 v89, v79, 0x3d64c772, v0
	v_dual_fmamk_f32 v85, v83, 0xbeae86e6, v86 :: v_dual_sub_f32 v80, v81, v80
	v_mul_f32_e32 v79, 0x3d64c772, v79
	v_add_f32_e32 v73, v73, v74
	v_dual_mul_f32 v74, 0xbf5ff5aa, v82 :: v_dual_add_f32 v31, v32, v31
	v_sub_f32_e32 v54, v19, v17
	v_sub_f32_e32 v17, v17, v33
	;; [unrolled: 1-line block ×3, first 2 shown]
	v_add_f32_e32 v33, v33, v49
	v_add_f32_e32 v49, v51, v34
	;; [unrolled: 1-line block ×3, first 2 shown]
	v_fma_f32 v79, 0x3f3bfb3b, v80, -v79
	v_fma_f32 v80, 0xbf3bfb3b, v80, -v0
	;; [unrolled: 1-line block ×3, first 2 shown]
	v_mul_f32_e32 v127, 0x3d64c772, v125
	v_sub_f32_e32 v55, v51, v34
	v_sub_f32_e32 v51, v50, v51
	v_sub_f32_e32 v34, v34, v50
	v_dual_add_f32 v49, v49, v50 :: v_dual_mul_f32 v50, 0x3d64c772, v19
	v_add_f32_e32 v9, v9, v33
	v_fma_f32 v82, 0xbf5ff5aa, v82, -v86
	v_lshl_add_u32 v0, v56, 2, 0
	v_add_f32_e32 v56, v79, v65
	v_dual_add_f32 v65, v80, v65 :: v_dual_fmac_f32 v74, 0xbee1c552, v87
	v_fma_f32 v127, 0x3f3bfb3b, v136, -v127
	v_fma_f32 v50, 0x3f3bfb3b, v54, -v50
	v_fmamk_f32 v33, v33, 0xbf955555, v9
	v_fmamk_f32 v125, v125, 0x3d64c772, v6
	v_fma_f32 v6, 0xbf3bfb3b, v136, -v6
	v_fma_f32 v136, 0x3eae86e6, v133, -v152
	v_fmac_f32_e32 v85, 0xbee1c552, v87
	v_fmac_f32_e32 v82, 0xbee1c552, v87
	v_add_f32_e32 v62, v77, v57
	v_dual_add_f32 v6, v6, v122 :: v_dual_add_nc_u32 v159, 0x1c00, v3
	v_add_f32_e32 v79, v74, v65
	v_dual_sub_f32 v65, v65, v74 :: v_dual_fmac_f32 v136, 0xbee1c552, v121
	v_mul_f32_e32 v55, 0x3f08b237, v55
	v_sub_f32_e32 v57, v57, v77
	v_dual_add_f32 v77, v85, v81 :: v_dual_add_nc_u32 v160, 0x2000, v0
	s_delay_alu instid0(VALU_DEP_4)
	v_sub_f32_e32 v152, v6, v136
	v_sub_f32_e32 v80, v56, v82
	v_dual_add_f32 v56, v82, v56 :: v_dual_mul_f32 v93, 0xbf5ff5aa, v34
	v_fma_f32 v34, 0xbf5ff5aa, v34, -v55
	v_dual_add_f32 v50, v50, v33 :: v_dual_add_f32 v125, v125, v122
	v_add_f32_e32 v122, v127, v122
	ds_store_2addr_b32 v159, v62, v78 offset0:21 offset1:70
	ds_store_2addr_b32 v159, v73, v57 offset0:119 offset1:168
	;; [unrolled: 1-line block ×5, first 2 shown]
	v_fmac_f32_e32 v34, 0xbee1c552, v49
	v_dual_add_f32 v56, v68, v64 :: v_dual_sub_f32 v57, v63, v67
	v_add_f32_e32 v21, v21, v45
	v_add_f32_e32 v15, v15, v110
	s_delay_alu instid0(VALU_DEP_3) | instskip(SKIP_3) | instid1(VALU_DEP_4)
	v_dual_sub_f32 v171, v105, v104 :: v_dual_add_f32 v58, v56, v58
	v_sub_f32_e32 v63, v161, v56
	v_dual_sub_f32 v163, v56, v162 :: v_dual_sub_f32 v56, v57, v105
	v_add_f32_e32 v64, v57, v105
	v_dual_sub_f32 v164, v104, v57 :: v_dual_add_f32 v13, v13, v58
	s_delay_alu instid0(VALU_DEP_4) | instskip(NEXT) | instid1(VALU_DEP_4)
	v_mul_f32_e32 v165, 0x3f4a47b2, v63
	v_mul_f32_e32 v166, 0x3f08b237, v56
	s_delay_alu instid0(VALU_DEP_4) | instskip(SKIP_2) | instid1(VALU_DEP_4)
	v_add_f32_e32 v167, v64, v104
	v_dual_sub_f32 v161, v162, v161 :: v_dual_mul_f32 v162, 0x3d64c772, v163
	v_fmamk_f32 v168, v58, 0xbf955555, v13
	v_fmamk_f32 v169, v164, 0xbeae86e6, v166
	;; [unrolled: 1-line block ×3, first 2 shown]
	v_add_f32_e32 v32, v15, v111
	v_mul_f32_e32 v163, 0xbf5ff5aa, v171
	v_fma_f32 v162, 0x3f3bfb3b, v161, -v162
	v_fmac_f32_e32 v169, 0xbee1c552, v167
	v_fma_f32 v161, 0xbf3bfb3b, v161, -v165
	v_add_f32_e32 v170, v57, v168
	v_fma_f32 v165, 0xbf5ff5aa, v171, -v166
	v_sub_f32_e32 v110, v15, v111
	v_sub_f32_e32 v111, v111, v31
	v_add_f32_e32 v161, v161, v168
	v_sub_f32_e32 v15, v31, v15
	v_add_f32_e32 v31, v31, v32
	v_add_f32_e32 v32, v108, v16
	v_fma_f32 v163, 0x3eae86e6, v164, -v163
	v_sub_f32_e32 v164, v170, v169
	v_dual_add_f32 v162, v162, v168 :: v_dual_fmac_f32 v165, 0xbee1c552, v167
	s_delay_alu instid0(VALU_DEP_3)
	v_dual_sub_f32 v108, v109, v108 :: v_dual_fmac_f32 v163, 0xbee1c552, v167
	v_dual_sub_f32 v16, v16, v109 :: v_dual_sub_f32 v61, v95, v90
	v_sub_f32_e32 v62, v66, v94
	v_sub_f32_e32 v56, v81, v85
	ds_store_b32 v4, v59 offset:3920
	ds_store_b32 v5, v60 offset:5292
	;; [unrolled: 1-line block ×5, first 2 shown]
	s_waitcnt lgkmcnt(0)
	s_barrier
	buffer_gl0_inv
	ds_load_b32 v151, v141 offset:9408
	ds_load_2addr_b32 v[56:57], v141 offset1:49
	ds_load_2addr_b32 v[66:67], v145 offset0:38 offset1:87
	ds_load_2addr_b32 v[62:63], v142 offset0:174 offset1:223
	;; [unrolled: 1-line block ×23, first 2 shown]
	s_waitcnt lgkmcnt(0)
	s_barrier
	buffer_gl0_inv
	ds_store_2addr_b32 v141, v13, v164 offset1:49
	v_dual_sub_f32 v13, v161, v163 :: v_dual_add_f32 v32, v32, v109
	v_sub_f32_e32 v153, v162, v165
	v_mul_f32_e32 v109, 0x3d64c772, v15
	v_add_f32_e32 v12, v12, v31
	v_dual_mul_f32 v120, 0xbf5ff5aa, v16 :: v_dual_sub_f32 v29, v29, v43
	v_sub_f32_e32 v43, v48, v47
	v_mul_f32_e32 v111, 0x3f4a47b2, v111
	v_fma_f32 v109, 0x3f3bfb3b, v110, -v109
	v_fmamk_f32 v31, v31, 0xbf955555, v12
	v_fma_f32 v16, 0xbf5ff5aa, v16, -v118
	v_mul_f32_e32 v17, 0x3f4a47b2, v17
	v_fmamk_f32 v15, v15, 0x3d64c772, v111
	v_fma_f32 v110, 0xbf3bfb3b, v110, -v111
	v_fma_f32 v111, 0x3eae86e6, v108, -v120
	v_dual_fmamk_f32 v108, v108, 0xbeae86e6, v118 :: v_dual_add_f32 v109, v109, v31
	v_fmac_f32_e32 v16, 0xbee1c552, v32
	s_delay_alu instid0(VALU_DEP_3) | instskip(NEXT) | instid1(VALU_DEP_3)
	v_dual_add_f32 v110, v110, v31 :: v_dual_fmac_f32 v111, 0xbee1c552, v32
	v_dual_add_f32 v15, v15, v31 :: v_dual_fmac_f32 v108, 0xbee1c552, v32
	s_delay_alu instid0(VALU_DEP_3) | instskip(NEXT) | instid1(VALU_DEP_3)
	v_dual_add_f32 v31, v16, v109 :: v_dual_sub_f32 v16, v109, v16
	v_dual_sub_f32 v32, v110, v111 :: v_dual_add_f32 v109, v111, v110
	s_delay_alu instid0(VALU_DEP_3) | instskip(SKIP_4) | instid1(VALU_DEP_4)
	v_dual_sub_f32 v110, v15, v108 :: v_dual_mul_f32 v137, 0x3f08b237, v137
	v_fmamk_f32 v19, v19, 0x3d64c772, v17
	v_fma_f32 v17, 0xbf3bfb3b, v54, -v17
	v_fma_f32 v54, 0x3eae86e6, v51, -v93
	v_dual_fmamk_f32 v51, v51, 0xbeae86e6, v55 :: v_dual_add_f32 v20, v20, v46
	v_add_f32_e32 v19, v19, v33
	s_delay_alu instid0(VALU_DEP_4) | instskip(SKIP_1) | instid1(VALU_DEP_4)
	v_add_f32_e32 v17, v17, v33
	v_add_f32_e32 v33, v34, v50
	v_dual_sub_f32 v34, v50, v34 :: v_dual_fmac_f32 v51, 0xbee1c552, v49
	v_fmamk_f32 v133, v133, 0xbeae86e6, v137
	v_fma_f32 v1, 0xbf5ff5aa, v1, -v137
	v_add_f32_e32 v35, v38, v35
	v_sub_f32_e32 v30, v30, v44
	s_delay_alu instid0(VALU_DEP_4) | instskip(NEXT) | instid1(VALU_DEP_4)
	v_dual_sub_f32 v50, v19, v51 :: v_dual_fmac_f32 v133, 0xbee1c552, v121
	v_fmac_f32_e32 v1, 0xbee1c552, v121
	v_add_f32_e32 v38, v20, v21
	v_dual_sub_f32 v44, v20, v21 :: v_dual_sub_f32 v21, v21, v35
	v_add_f32_e32 v138, v165, v162
	v_dual_sub_f32 v137, v125, v133 :: v_dual_sub_f32 v20, v35, v20
	s_delay_alu instid0(VALU_DEP_4)
	v_add_f32_e32 v35, v35, v38
	v_add_f32_e32 v38, v43, v29
	v_mul_f32_e32 v21, 0x3f4a47b2, v21
	v_add_f32_e32 v121, v163, v161
	v_dual_add_f32 v127, v169, v170 :: v_dual_fmac_f32 v54, 0xbee1c552, v49
	v_add_f32_e32 v161, v1, v122
	v_sub_f32_e32 v1, v122, v1
	v_sub_f32_e32 v45, v43, v29
	;; [unrolled: 1-line block ×4, first 2 shown]
	v_add_f32_e32 v30, v38, v30
	v_mul_f32_e32 v38, 0x3d64c772, v20
	v_fmamk_f32 v20, v20, 0x3d64c772, v21
	ds_store_2addr_b32 v141, v13, v138 offset0:98 offset1:147
	ds_store_2addr_b32 v141, v153, v121 offset0:196 offset1:245
	;; [unrolled: 1-line block ×5, first 2 shown]
	v_dual_add_f32 v1, v136, v6 :: v_dual_add_f32 v10, v10, v35
	v_dual_add_f32 v6, v150, v119 :: v_dual_mul_f32 v45, 0x3f08b237, v45
	v_fma_f32 v38, 0x3f3bfb3b, v44, -v38
	v_mul_f32_e32 v46, 0xbf5ff5aa, v29
	s_delay_alu instid0(VALU_DEP_4)
	v_fmamk_f32 v35, v35, 0xbf955555, v10
	v_add_f32_e32 v13, v149, v117
	v_fma_f32 v29, 0xbf5ff5aa, v29, -v45
	v_add_f32_e32 v117, v130, v129
	v_fma_f32 v21, 0xbf3bfb3b, v44, -v21
	v_add_f32_e32 v20, v20, v35
	v_dual_add_f32 v38, v38, v35 :: v_dual_add_f32 v119, v13, v6
	v_fma_f32 v44, 0x3eae86e6, v43, -v46
	v_fmamk_f32 v43, v43, 0xbeae86e6, v45
	v_fmac_f32_e32 v29, 0xbee1c552, v30
	v_dual_sub_f32 v121, v126, v128 :: v_dual_sub_f32 v122, v13, v6
	v_sub_f32_e32 v6, v6, v117
	v_fmac_f32_e32 v44, 0xbee1c552, v30
	v_fmac_f32_e32 v43, 0xbee1c552, v30
	v_add_f32_e32 v30, v29, v38
	v_sub_f32_e32 v13, v117, v13
	v_dual_add_f32 v117, v117, v119 :: v_dual_add_f32 v22, v22, v42
	v_dual_add_f32 v119, v121, v112 :: v_dual_add_f32 v28, v28, v41
	v_add_f32_e32 v14, v133, v125
	v_sub_f32_e32 v125, v121, v112
	v_sub_f32_e32 v121, v113, v121
	;; [unrolled: 1-line block ×3, first 2 shown]
	v_dual_add_f32 v113, v119, v113 :: v_dual_sub_f32 v26, v26, v36
	v_dual_sub_f32 v29, v38, v29 :: v_dual_sub_f32 v38, v20, v43
	v_dual_mul_f32 v119, 0x3d64c772, v13 :: v_dual_sub_f32 v18, v18, v23
	v_mul_f32_e32 v6, 0x3f4a47b2, v6
	v_mul_f32_e32 v126, 0xbf5ff5aa, v112
	v_sub_f32_e32 v27, v27, v40
	v_add_f32_e32 v37, v39, v37
	v_dual_add_f32 v11, v11, v117 :: v_dual_add_f32 v36, v28, v22
	v_mul_f32_e32 v125, 0x3f08b237, v125
	v_sub_f32_e32 v39, v18, v26
	v_fmamk_f32 v13, v13, 0x3d64c772, v6
	v_fma_f32 v119, 0x3f3bfb3b, v122, -v119
	v_fma_f32 v6, 0xbf3bfb3b, v122, -v6
	v_add_f32_e32 v20, v43, v20
	v_fma_f32 v122, 0x3eae86e6, v121, -v126
	v_dual_sub_f32 v23, v28, v22 :: v_dual_sub_f32 v22, v22, v37
	v_sub_f32_e32 v28, v37, v28
	v_fmamk_f32 v117, v117, 0xbf955555, v11
	v_add_f32_e32 v36, v37, v36
	v_fma_f32 v112, 0xbf5ff5aa, v112, -v125
	v_fmamk_f32 v121, v121, 0xbeae86e6, v125
	v_add_f32_e32 v37, v18, v26
	v_sub_f32_e32 v26, v26, v27
	v_mul_f32_e32 v39, 0x3f08b237, v39
	v_fmac_f32_e32 v112, 0xbee1c552, v113
	v_fmac_f32_e32 v122, 0xbee1c552, v113
	v_sub_f32_e32 v18, v27, v18
	v_dual_add_f32 v119, v119, v117 :: v_dual_mul_f32 v22, 0x3f4a47b2, v22
	v_add_f32_e32 v6, v6, v117
	v_dual_add_f32 v13, v13, v117 :: v_dual_add_f32 v8, v8, v36
	v_add_f32_e32 v27, v37, v27
	v_mul_f32_e32 v37, 0x3d64c772, v28
	v_mul_f32_e32 v40, 0xbf5ff5aa, v26
	v_fma_f32 v26, 0xbf5ff5aa, v26, -v39
	v_fmac_f32_e32 v121, 0xbee1c552, v113
	v_dual_add_f32 v113, v112, v119 :: v_dual_sub_f32 v112, v119, v112
	v_dual_sub_f32 v117, v6, v122 :: v_dual_fmamk_f32 v28, v28, 0x3d64c772, v22
	v_fma_f32 v37, 0x3f3bfb3b, v23, -v37
	v_fmamk_f32 v36, v36, 0xbf955555, v8
	v_fma_f32 v22, 0xbf3bfb3b, v23, -v22
	v_fma_f32 v23, 0x3eae86e6, v18, -v40
	v_fmamk_f32 v18, v18, 0xbeae86e6, v39
	v_dual_fmac_f32 v26, 0xbee1c552, v27 :: v_dual_sub_f32 v119, v13, v121
	s_delay_alu instid0(VALU_DEP_4)
	v_dual_add_f32 v13, v121, v13 :: v_dual_add_f32 v22, v22, v36
	v_add_f32_e32 v21, v21, v35
	v_add_f32_e32 v37, v37, v36
	v_dual_fmac_f32 v23, 0xbee1c552, v27 :: v_dual_add_f32 v28, v28, v36
	v_fmac_f32_e32 v18, 0xbee1c552, v27
	v_dual_add_f32 v6, v122, v6 :: v_dual_add_f32 v15, v108, v15
	v_sub_f32_e32 v49, v17, v54
	v_add_f32_e32 v17, v54, v17
	v_add_f32_e32 v19, v51, v19
	v_sub_f32_e32 v35, v21, v44
	v_add_f32_e32 v21, v44, v21
	v_dual_add_f32 v27, v26, v37 :: v_dual_sub_f32 v26, v37, v26
	v_sub_f32_e32 v36, v22, v23
	v_add_f32_e32 v22, v23, v22
	v_dual_sub_f32 v23, v28, v18 :: v_dual_add_f32 v18, v18, v28
	ds_store_2addr_b32 v142, v1, v14 offset0:76 offset1:125
	ds_store_2addr_b32 v7, v11, v119 offset0:174 offset1:223
	;; [unrolled: 1-line block ×16, first 2 shown]
	ds_store_b32 v4, v13 offset:3920
	ds_store_b32 v5, v15 offset:5292
	;; [unrolled: 1-line block ×5, first 2 shown]
	s_waitcnt lgkmcnt(0)
	s_barrier
	buffer_gl0_inv
	s_and_saveexec_b32 s2, vcc_lo
	s_cbranch_execz .LBB0_15
; %bb.14:
	v_mul_u32_u24_e32 v0, 6, v135
	v_mad_u32_u24 v54, v135, 6, 0xfffffeda
	v_add_co_u32 v112, s2, s8, v92
	v_mad_u64_u32 v[92:93], null, s0, v24, 0
	s_delay_alu instid0(VALU_DEP_4)
	v_dual_mov_b32 v55, 0 :: v_dual_lshlrev_b32 v8, 3, v0
	v_add_co_ci_u32_e64 v113, null, s9, 0, s2
	s_clause 0x2
	global_load_b128 v[0:3], v8, s[8:9] offset:2688
	global_load_b128 v[4:7], v8, s[8:9] offset:2720
	;; [unrolled: 1-line block ×3, first 2 shown]
	v_lshlrev_b64 v[12:13], 3, v[54:55]
	v_mad_u32_u24 v54, v135, 6, 0xfffffdb4
	v_lshlrev_b64 v[52:53], 3, v[52:53]
	s_delay_alu instid0(VALU_DEP_2) | instskip(NEXT) | instid1(VALU_DEP_4)
	v_lshlrev_b64 v[26:27], 3, v[54:55]
	v_add_co_u32 v20, vcc_lo, s8, v12
	v_add_co_ci_u32_e32 v21, vcc_lo, s9, v13, vcc_lo
	s_clause 0x2
	global_load_b128 v[12:15], v[20:21], off offset:2688
	global_load_b128 v[16:19], v[20:21], off offset:2720
	;; [unrolled: 1-line block ×3, first 2 shown]
	v_add_co_u32 v26, vcc_lo, s8, v26
	v_add_co_ci_u32_e32 v27, vcc_lo, s9, v27, vcc_lo
	s_clause 0x2
	global_load_b128 v[28:31], v[26:27], off offset:2688
	global_load_b128 v[32:35], v[26:27], off offset:2720
	;; [unrolled: 1-line block ×3, first 2 shown]
	v_mad_u32_u24 v54, v135, 6, 0xfffffc8e
	v_mul_lo_u32 v26, s1, v24
	v_mul_lo_u32 v27, s0, v25
	ds_load_2addr_b32 v[128:129], v142 offset0:76 offset1:125
	ds_load_b32 v148, v141 offset:9408
	ds_load_2addr_b32 v[108:109], v114 offset0:130 offset1:179
	ds_load_2addr_b32 v[130:131], v107 offset0:122 offset1:171
	;; [unrolled: 1-line block ×10, first 2 shown]
	v_lshlrev_b64 v[24:25], 3, v[54:55]
	v_mad_u32_u24 v54, v135, 6, 0xfffffb68
	ds_load_2addr_b32 v[124:125], v147 offset0:152 offset1:201
	ds_load_2addr_b32 v[126:127], v116 offset0:70 offset1:119
	;; [unrolled: 1-line block ×4, first 2 shown]
	v_add3_u32 v93, v93, v27, v26
	v_lshlrev_b64 v[40:41], 3, v[54:55]
	v_mad_u32_u24 v54, v135, 6, 0xfffffa42
	v_add_co_u32 v42, vcc_lo, s8, v24
	v_add_co_ci_u32_e32 v43, vcc_lo, s9, v25, vcc_lo
	s_delay_alu instid0(VALU_DEP_3)
	v_lshlrev_b64 v[44:45], 3, v[54:55]
	v_add_co_u32 v40, vcc_lo, s8, v40
	v_add_co_ci_u32_e32 v41, vcc_lo, s9, v41, vcc_lo
	ds_load_2addr_b32 v[134:135], v134 offset0:16 offset1:65
	v_add_co_u32 v149, vcc_lo, s8, v44
	v_add_co_ci_u32_e32 v150, vcc_lo, s9, v45, vcc_lo
	s_clause 0x9
	global_load_b128 v[24:27], v[112:113], off offset:2720
	global_load_b128 v[152:155], v[42:43], off offset:2688
	;; [unrolled: 1-line block ×10, first 2 shown]
	s_waitcnt vmcnt(17) lgkmcnt(15)
	v_dual_mul_f32 v54, v1, v129 :: v_dual_mul_f32 v149, v7, v148
	s_waitcnt vmcnt(16) lgkmcnt(14)
	v_mul_f32_e32 v150, v11, v108
	s_waitcnt lgkmcnt(12)
	v_dual_mul_f32 v176, v9, v131 :: v_dual_mul_f32 v177, v3, v106
	s_waitcnt lgkmcnt(11)
	v_dual_mul_f32 v178, v5, v133 :: v_dual_mul_f32 v7, v151, v7
	v_mul_f32_e32 v9, v101, v9
	v_dual_mul_f32 v1, v103, v1 :: v_dual_fmac_f32 v150, v64, v10
	v_dual_mul_f32 v11, v64, v11 :: v_dual_fmac_f32 v54, v103, v0
	v_mul_f32_e32 v5, v105, v5
	v_dual_mul_f32 v3, v58, v3 :: v_dual_fmac_f32 v176, v101, v8
	v_dual_fmac_f32 v149, v151, v6 :: v_dual_fmac_f32 v178, v105, v4
	v_fmac_f32_e32 v177, v58, v2
	v_fma_f32 v6, v6, v148, -v7
	v_fma_f32 v0, v0, v129, -v1
	;; [unrolled: 1-line block ×4, first 2 shown]
	s_waitcnt vmcnt(15) lgkmcnt(7)
	v_mul_f32_e32 v10, v15, v137
	v_fma_f32 v2, v2, v106, -v3
	s_waitcnt vmcnt(13)
	v_mul_f32_e32 v8, v23, v139
	v_fma_f32 v4, v4, v133, -v5
	v_dual_mul_f32 v3, v13, v128 :: v_dual_sub_f32 v58, v54, v149
	v_dual_mul_f32 v9, v21, v130 :: v_dual_add_f32 v54, v54, v149
	v_mul_f32_e32 v11, v17, v132
	s_delay_alu instid0(VALU_DEP_4)
	v_dual_mul_f32 v21, v100, v21 :: v_dual_add_f32 v108, v2, v4
	v_dual_mul_f32 v23, v97, v23 :: v_dual_sub_f32 v2, v2, v4
	v_add_f32_e32 v103, v0, v6
	v_sub_f32_e32 v0, v0, v6
	v_add_f32_e32 v129, v177, v178
	v_add_f32_e32 v105, v7, v1
	v_sub_f32_e32 v1, v7, v1
	v_dual_mul_f32 v5, v19, v123 :: v_dual_sub_f32 v64, v150, v176
	v_dual_mul_f32 v19, v99, v19 :: v_dual_add_f32 v106, v150, v176
	v_dual_mul_f32 v13, v102, v13 :: v_dual_fmac_f32 v8, v97, v22
	v_dual_mul_f32 v17, v104, v17 :: v_dual_fmac_f32 v10, v95, v14
	v_mul_f32_e32 v15, v95, v15
	v_fmac_f32_e32 v11, v104, v16
	v_sub_f32_e32 v104, v0, v1
	v_dual_fmac_f32 v9, v100, v20 :: v_dual_sub_f32 v100, v106, v129
	v_fmac_f32_e32 v3, v102, v12
	v_fmac_f32_e32 v5, v99, v18
	v_fma_f32 v4, v18, v123, -v19
	v_fma_f32 v6, v12, v128, -v13
	;; [unrolled: 1-line block ×4, first 2 shown]
	s_waitcnt vmcnt(12)
	v_mul_f32_e32 v22, v89, v29
	v_fma_f32 v13, v16, v132, -v17
	s_waitcnt vmcnt(10)
	v_dual_mul_f32 v17, v39, v138 :: v_dual_sub_f32 v128, v8, v9
	s_waitcnt lgkmcnt(4)
	v_mul_f32_e32 v18, v37, v125
	v_fma_f32 v14, v14, v137, -v15
	s_waitcnt lgkmcnt(3)
	v_mul_f32_e32 v20, v33, v127
	v_dual_add_f32 v102, v54, v129 :: v_dual_sub_f32 v123, v1, v2
	v_add_f32_e32 v1, v1, v2
	v_sub_f32_e32 v99, v54, v106
	v_sub_f32_e32 v54, v129, v54
	;; [unrolled: 1-line block ×3, first 2 shown]
	v_dual_mul_f32 v16, v35, v122 :: v_dual_mul_f32 v15, v29, v115
	v_dual_mul_f32 v19, v31, v136 :: v_dual_add_f32 v132, v14, v13
	v_dual_mul_f32 v21, v98, v35 :: v_dual_fmac_f32 v18, v87, v36
	v_dual_mul_f32 v23, v87, v37 :: v_dual_add_f32 v130, v6, v4
	v_dual_mul_f32 v29, v96, v39 :: v_dual_sub_f32 v4, v6, v4
	v_mul_f32_e32 v33, v85, v33
	v_dual_mul_f32 v31, v94, v31 :: v_dual_fmac_f32 v20, v85, v32
	v_dual_sub_f32 v35, v58, v64 :: v_dual_sub_f32 v6, v12, v7
	v_dual_sub_f32 v37, v64, v101 :: v_dual_fmac_f32 v16, v98, v34
	v_sub_f32_e32 v95, v105, v108
	v_add_f32_e32 v39, v64, v101
	v_sub_f32_e32 v64, v103, v105
	v_add_f32_e32 v97, v103, v108
	v_dual_sub_f32 v103, v108, v103 :: v_dual_sub_f32 v108, v3, v5
	v_add_f32_e32 v3, v3, v5
	v_dual_add_f32 v5, v8, v9 :: v_dual_add_f32 v8, v10, v11
	v_add_f32_e32 v131, v12, v7
	v_sub_f32_e32 v7, v14, v13
	v_fmac_f32_e32 v15, v89, v28
	v_fma_f32 v9, v34, v122, -v21
	v_fma_f32 v12, v38, v138, -v29
	v_fmac_f32_e32 v19, v94, v30
	v_fma_f32 v13, v32, v127, -v33
	v_fma_f32 v14, v30, v136, -v31
	v_add_f32_e32 v32, v106, v102
	v_sub_f32_e32 v98, v6, v7
	v_sub_f32_e32 v102, v132, v130
	v_fmac_f32_e32 v17, v96, v38
	v_sub_f32_e32 v38, v108, v128
	v_add_f32_e32 v34, v0, v1
	v_dual_mul_f32 v30, 0x3f4a47b2, v99 :: v_dual_add_f32 v29, v105, v97
	v_dual_sub_f32 v97, v4, v6 :: v_dual_add_f32 v6, v6, v7
	v_dual_sub_f32 v129, v10, v11 :: v_dual_sub_f32 v94, v3, v5
	v_sub_f32_e32 v101, v101, v58
	v_fma_f32 v11, v36, v125, -v23
	v_sub_f32_e32 v2, v2, v0
	v_fma_f32 v10, v28, v115, -v22
	v_mul_f32_e32 v28, 0x3d64c772, v95
	v_add_f32_e32 v22, v58, v39
	v_add_f32_e32 v58, v128, v129
	v_dual_mul_f32 v36, 0xbf5ff5aa, v101 :: v_dual_sub_f32 v95, v5, v8
	v_add_f32_e32 v96, v3, v8
	v_dual_add_f32 v122, v12, v11 :: v_dual_mul_f32 v21, 0x3f08b237, v37
	v_sub_f32_e32 v106, v19, v20
	v_mul_f32_e32 v23, 0x3f4a47b2, v64
	v_dual_mul_f32 v33, 0x3f08b237, v123 :: v_dual_add_f32 v0, v66, v32
	v_sub_f32_e32 v39, v128, v129
	v_sub_f32_e32 v87, v131, v132
	v_dual_sub_f32 v3, v8, v3 :: v_dual_sub_f32 v8, v15, v16
	v_add_f32_e32 v115, v10, v9
	v_add_f32_e32 v123, v14, v13
	v_dual_sub_f32 v9, v10, v9 :: v_dual_fmamk_f32 v32, v32, 0xbf955555, v0
	v_dual_sub_f32 v10, v12, v11 :: v_dual_sub_f32 v11, v14, v13
	v_dual_add_f32 v15, v15, v16 :: v_dual_add_f32 v16, v17, v18
	v_dual_sub_f32 v105, v17, v18 :: v_dual_fmamk_f32 v12, v35, 0xbeae86e6, v21
	v_add_f32_e32 v17, v19, v20
	v_fmamk_f32 v13, v64, 0x3f4a47b2, v28
	v_fma_f32 v20, 0x3eae86e6, v35, -v36
	v_dual_add_f32 v5, v5, v96 :: v_dual_mul_f32 v66, 0x3f08b237, v98
	v_dual_add_f32 v89, v130, v132 :: v_dual_mul_f32 v64, 0x3d64c772, v95
	v_mul_f32_e32 v31, 0x3d64c772, v100
	v_dual_sub_f32 v100, v129, v108 :: v_dual_mul_f32 v37, 0xbf5ff5aa, v2
	v_dual_sub_f32 v7, v7, v4 :: v_dual_add_f32 v4, v4, v6
	v_dual_fmamk_f32 v19, v104, 0xbeae86e6, v33 :: v_dual_add_f32 v14, v91, v5
	v_fma_f32 v30, 0xbf3bfb3b, v54, -v30
	v_fma_f32 v21, 0xbf5ff5aa, v101, -v21
	;; [unrolled: 1-line block ×3, first 2 shown]
	v_add_f32_e32 v1, v110, v29
	v_fma_f32 v2, 0x3f3bfb3b, v54, -v31
	v_dual_add_f32 v54, v131, v89 :: v_dual_sub_f32 v85, v130, v131
	v_fmamk_f32 v18, v99, 0x3f4a47b2, v31
	v_mul_f32_e32 v6, 0xbf5ff5aa, v100
	v_fma_f32 v35, 0x3eae86e6, v104, -v37
	v_fmac_f32_e32 v12, 0xbee1c552, v22
	v_sub_f32_e32 v104, v16, v17
	v_dual_add_f32 v96, v105, v106 :: v_dual_mul_f32 v31, 0x3f08b237, v39
	v_add_f32_e32 v33, v108, v58
	v_mul_f32_e32 v58, 0x3f4a47b2, v94
	v_mul_f32_e32 v39, 0x3d64c772, v87
	v_fmac_f32_e32 v20, 0xbee1c552, v22
	v_dual_sub_f32 v110, v10, v11 :: v_dual_fmamk_f32 v91, v97, 0xbeae86e6, v66
	v_fma_f32 v66, 0xbf5ff5aa, v7, -v66
	v_dual_mul_f32 v37, 0x3f4a47b2, v85 :: v_dual_sub_f32 v108, v9, v10
	v_sub_f32_e32 v98, v115, v122
	v_dual_add_f32 v101, v115, v123 :: v_dual_add_f32 v18, v18, v32
	s_delay_alu instid0(VALU_DEP_4)
	v_dual_fmac_f32 v19, 0xbee1c552, v34 :: v_dual_fmac_f32 v66, 0xbee1c552, v4
	v_fmac_f32_e32 v35, 0xbee1c552, v34
	v_fmac_f32_e32 v21, 0xbee1c552, v22
	v_fmac_f32_e32 v36, 0xbee1c552, v34
	v_dual_fmamk_f32 v22, v85, 0x3f4a47b2, v39 :: v_dual_fmamk_f32 v85, v94, 0x3f4a47b2, v64
	v_add_f32_e32 v94, v8, v96
	v_fmamk_f32 v34, v38, 0xbeae86e6, v31
	v_fma_f32 v23, 0xbf3bfb3b, v103, -v23
	v_fma_f32 v28, 0x3f3bfb3b, v103, -v28
	v_dual_add_f32 v10, v10, v11 :: v_dual_sub_f32 v103, v15, v16
	s_delay_alu instid0(VALU_DEP_4)
	v_fmac_f32_e32 v34, 0xbee1c552, v33
	v_sub_f32_e32 v89, v8, v105
	v_fma_f32 v38, 0x3eae86e6, v38, -v6
	v_fma_f32 v31, 0xbf5ff5aa, v100, -v31
	v_dual_mul_f32 v6, 0x3f4a47b2, v98 :: v_dual_sub_f32 v11, v11, v9
	v_fmamk_f32 v100, v5, 0xbf955555, v14
	v_sub_f32_e32 v95, v105, v106
	v_dual_add_f32 v105, v15, v17 :: v_dual_add_f32 v30, v30, v32
	v_dual_mul_f32 v87, 0xbf5ff5aa, v7 :: v_dual_sub_f32 v106, v106, v8
	v_dual_sub_f32 v17, v17, v15 :: v_dual_fmac_f32 v38, 0xbee1c552, v33
	s_delay_alu instid0(VALU_DEP_3)
	v_dual_add_f32 v16, v16, v105 :: v_dual_fmamk_f32 v29, v29, 0xbf955555, v1
	v_sub_f32_e32 v99, v122, v123
	v_fma_f32 v37, 0xbf3bfb3b, v102, -v37
	v_fma_f32 v58, 0xbf3bfb3b, v3, -v58
	v_fma_f32 v87, 0x3eae86e6, v97, -v87
	v_add_f32_e32 v28, v28, v29
	v_fma_f32 v64, 0x3f3bfb3b, v3, -v64
	v_mul_f32_e32 v7, 0x3d64c772, v99
	v_mul_f32_e32 v8, 0x3f4a47b2, v103
	;; [unrolled: 1-line block ×3, first 2 shown]
	v_fma_f32 v39, 0x3f3bfb3b, v102, -v39
	v_dual_add_f32 v99, v9, v10 :: v_dual_mul_f32 v10, 0xbf5ff5aa, v11
	v_add_f32_e32 v13, v13, v29
	v_add_f32_e32 v23, v23, v29
	;; [unrolled: 1-line block ×3, first 2 shown]
	v_mul_f32_e32 v3, 0x3f08b237, v95
	v_dual_add_f32 v95, v122, v101 :: v_dual_fmamk_f32 v102, v103, 0x3f4a47b2, v96
	v_fmac_f32_e32 v87, 0xbee1c552, v4
	v_dual_mul_f32 v9, 0xbf5ff5aa, v106 :: v_dual_add_f32 v32, v90, v16
	v_fma_f32 v90, 0xbf3bfb3b, v17, -v8
	v_sub_f32_e32 v8, v29, v36
	v_fmamk_f32 v101, v89, 0xbeae86e6, v3
	v_fma_f32 v106, 0xbf5ff5aa, v106, -v3
	v_add_f32_e32 v3, v12, v13
	v_dual_sub_f32 v13, v13, v12 :: v_dual_add_f32 v12, v19, v18
	v_dual_add_f32 v15, v121, v54 :: v_dual_fmamk_f32 v98, v98, 0x3f4a47b2, v7
	v_sub_f32_e32 v115, v123, v115
	v_mul_f32_e32 v97, 0x3f08b237, v110
	v_dual_fmac_f32 v31, 0xbee1c552, v33 :: v_dual_fmac_f32 v106, 0xbee1c552, v94
	s_delay_alu instid0(VALU_DEP_4)
	v_fmamk_f32 v54, v54, 0xbf955555, v15
	v_fma_f32 v104, 0x3eae86e6, v89, -v9
	v_fma_f32 v89, 0xbf3bfb3b, v115, -v6
	v_sub_f32_e32 v2, v18, v19
	v_add_f32_e32 v6, v36, v29
	v_dual_add_f32 v36, v58, v100 :: v_dual_fmamk_f32 v103, v108, 0xbeae86e6, v97
	v_fma_f32 v108, 0x3eae86e6, v108, -v10
	v_dual_add_f32 v10, v35, v30 :: v_dual_fmac_f32 v91, 0xbee1c552, v4
	v_fmac_f32_e32 v104, 0xbee1c552, v94
	v_sub_f32_e32 v4, v30, v35
	v_add_f32_e32 v30, v22, v54
	v_dual_add_f32 v22, v39, v54 :: v_dual_add_f32 v29, v64, v100
	v_add_f32_e32 v33, v120, v95
	v_fma_f32 v105, 0x3f3bfb3b, v115, -v7
	v_fma_f32 v97, 0xbf5ff5aa, v11, -v97
	v_fmamk_f32 v39, v16, 0xbf955555, v32
	v_sub_f32_e32 v7, v28, v21
	v_add_f32_e32 v9, v21, v28
	v_dual_add_f32 v28, v37, v54 :: v_dual_add_f32 v5, v20, v23
	v_sub_f32_e32 v11, v23, v20
	v_sub_f32_e32 v21, v22, v31
	v_add_f32_e32 v23, v31, v22
	v_dual_sub_f32 v22, v29, v66 :: v_dual_fmamk_f32 v37, v95, 0xbf955555, v33
	s_waitcnt vmcnt(6) lgkmcnt(2)
	v_mul_f32_e32 v95, v163, v119
	v_add_f32_e32 v35, v85, v100
	v_fma_f32 v96, 0x3f3bfb3b, v17, -v96
	v_add_f32_e32 v20, v66, v29
	s_delay_alu instid0(VALU_DEP_4) | instskip(SKIP_4) | instid1(VALU_DEP_4)
	v_dual_add_f32 v66, v90, v39 :: v_dual_fmac_f32 v95, v83, v162
	v_mul_f32_e32 v83, v83, v163
	v_add_f32_e32 v17, v34, v30
	v_add_f32_e32 v19, v38, v28
	v_dual_sub_f32 v29, v28, v38 :: v_dual_add_f32 v58, v102, v39
	v_fma_f32 v83, v162, v119, -v83
	v_add_f32_e32 v85, v105, v37
	s_clause 0x1
	global_load_b128 v[120:123], v[112:113], off offset:2688
	global_load_b128 v[127:130], v[112:113], off offset:2704
	ds_load_2addr_b32 v[131:132], v145 offset0:136 offset1:185
	v_add_f32_e32 v90, v106, v85
	v_sub_f32_e32 v16, v35, v91
	v_dual_fmac_f32 v108, 0xbee1c552, v99 :: v_dual_fmac_f32 v101, 0xbee1c552, v94
	v_mul_f32_e32 v94, v153, v114
	v_add_f32_e32 v54, v98, v37
	v_mul_f32_e32 v98, v84, v161
	v_sub_f32_e32 v18, v36, v87
	v_add_f32_e32 v28, v87, v36
	v_dual_sub_f32 v36, v66, v108 :: v_dual_fmac_f32 v97, 0xbee1c552, v99
	v_fmac_f32_e32 v94, v88, v152
	v_fma_f32 v98, v160, v126, -v98
	v_add_f32_e32 v87, v96, v39
	s_waitcnt lgkmcnt(1)
	v_mul_f32_e32 v96, v155, v135
	v_add_f32_e32 v64, v89, v37
	v_sub_f32_e32 v39, v85, v106
	s_delay_alu instid0(VALU_DEP_3) | instskip(SKIP_1) | instid1(VALU_DEP_4)
	v_fmac_f32_e32 v96, v81, v154
	v_mul_f32_e32 v81, v81, v155
	v_add_f32_e32 v37, v104, v64
	s_delay_alu instid0(VALU_DEP_2)
	v_fma_f32 v81, v154, v135, -v81
	ds_load_2addr_b32 v[135:136], v146 offset0:100 offset1:149
	v_add_f32_e32 v106, v81, v98
	v_dual_add_f32 v38, v97, v87 :: v_dual_sub_f32 v89, v87, v97
	v_dual_mul_f32 v87, v88, v153 :: v_dual_mul_f32 v88, v161, v126
	v_dual_sub_f32 v31, v30, v34 :: v_dual_add_f32 v30, v91, v35
	v_mul_f32_e32 v91, v157, v124
	s_delay_alu instid0(VALU_DEP_3) | instskip(NEXT) | instid1(VALU_DEP_2)
	v_dual_fmac_f32 v88, v84, v160 :: v_dual_add_f32 v35, v101, v54
	v_dual_add_f32 v84, v108, v66 :: v_dual_fmac_f32 v91, v86, v156
	v_mul_f32_e32 v86, v86, v157
	s_delay_alu instid0(VALU_DEP_3) | instskip(SKIP_1) | instid1(VALU_DEP_3)
	v_sub_f32_e32 v110, v96, v88
	v_add_f32_e32 v88, v96, v88
	v_fma_f32 v102, v156, v124, -v86
	v_dual_sub_f32 v85, v64, v104 :: v_dual_mul_f32 v64, v159, v117
	v_fmac_f32_e32 v103, 0xbee1c552, v99
	v_fma_f32 v99, v152, v114, -v87
	ds_load_2addr_b32 v[104:105], v141 offset0:98 offset1:147
	ds_load_2addr_b32 v[124:125], v147 offset0:54 offset1:103
	v_fmac_f32_e32 v64, v79, v158
	v_mul_f32_e32 v79, v79, v159
	v_add_f32_e32 v100, v99, v83
	v_dual_sub_f32 v34, v58, v103 :: v_dual_sub_f32 v81, v81, v98
	s_delay_alu instid0(VALU_DEP_3) | instskip(NEXT) | instid1(VALU_DEP_3)
	v_fma_f32 v79, v158, v117, -v79
	v_add_f32_e32 v108, v100, v106
	s_delay_alu instid0(VALU_DEP_2) | instskip(SKIP_1) | instid1(VALU_DEP_2)
	v_add_f32_e32 v86, v79, v102
	v_sub_f32_e32 v79, v79, v102
	v_sub_f32_e32 v114, v100, v86
	;; [unrolled: 1-line block ×3, first 2 shown]
	v_dual_sub_f32 v87, v54, v101 :: v_dual_add_f32 v64, v64, v91
	v_sub_f32_e32 v101, v86, v106
	v_add_f32_e32 v108, v86, v108
	v_sub_f32_e32 v66, v94, v95
	v_add_f32_e32 v86, v103, v58
	v_sub_f32_e32 v112, v97, v110
	v_dual_add_f32 v113, v97, v110 :: v_dual_add_f32 v94, v94, v95
	s_delay_alu instid0(VALU_DEP_4) | instskip(NEXT) | instid1(VALU_DEP_2)
	v_dual_sub_f32 v54, v66, v97 :: v_dual_mul_f32 v91, 0x3f4a47b2, v114
	v_dual_mul_f32 v112, 0x3f08b237, v112 :: v_dual_add_f32 v103, v66, v113
	s_delay_alu instid0(VALU_DEP_3) | instskip(SKIP_2) | instid1(VALU_DEP_3)
	v_sub_f32_e32 v98, v94, v64
	v_add_f32_e32 v95, v94, v88
	s_waitcnt lgkmcnt(1)
	v_dual_add_f32 v97, v105, v108 :: v_dual_fmamk_f32 v58, v54, 0xbeae86e6, v112
	v_dual_sub_f32 v96, v64, v88 :: v_dual_sub_f32 v83, v99, v83
	v_sub_f32_e32 v66, v110, v66
	v_add_f32_e32 v64, v64, v95
	s_delay_alu instid0(VALU_DEP_4)
	v_fmac_f32_e32 v58, 0xbee1c552, v103
	v_mul_f32_e32 v101, 0x3d64c772, v101
	v_fmamk_f32 v108, v108, 0xbf955555, v97
	v_mul_f32_e32 v102, 0x3d64c772, v96
	v_add_f32_e32 v96, v77, v64
	v_sub_f32_e32 v100, v106, v100
	v_fmamk_f32 v105, v114, 0x3f4a47b2, v101
	v_dual_sub_f32 v99, v79, v81 :: v_dual_mul_f32 v114, 0xbf5ff5aa, v66
	s_delay_alu instid0(VALU_DEP_4) | instskip(SKIP_1) | instid1(VALU_DEP_4)
	v_fmamk_f32 v64, v64, 0xbf955555, v96
	v_fmamk_f32 v77, v98, 0x3f4a47b2, v102
	v_add_f32_e32 v105, v105, v108
	s_delay_alu instid0(VALU_DEP_4) | instskip(SKIP_1) | instid1(VALU_DEP_4)
	v_mul_f32_e32 v99, 0x3f08b237, v99
	v_fma_f32 v54, 0x3eae86e6, v54, -v114
	v_dual_mul_f32 v98, 0x3f4a47b2, v98 :: v_dual_add_f32 v77, v77, v64
	v_sub_f32_e32 v113, v83, v79
	v_dual_add_f32 v95, v58, v105 :: v_dual_sub_f32 v88, v88, v94
	s_delay_alu instid0(VALU_DEP_4) | instskip(SKIP_1) | instid1(VALU_DEP_4)
	v_fmac_f32_e32 v54, 0xbee1c552, v103
	v_fma_f32 v66, 0xbf5ff5aa, v66, -v112
	v_dual_fmamk_f32 v110, v113, 0xbeae86e6, v99 :: v_dual_add_f32 v79, v79, v81
	v_sub_f32_e32 v81, v81, v83
	s_delay_alu instid0(VALU_DEP_3) | instskip(NEXT) | instid1(VALU_DEP_3)
	v_fmac_f32_e32 v66, 0xbee1c552, v103
	v_add_f32_e32 v79, v83, v79
	v_fma_f32 v83, 0xbf3bfb3b, v100, -v91
	v_fma_f32 v91, 0xbf3bfb3b, v88, -v98
	v_mul_f32_e32 v98, 0xbf5ff5aa, v81
	v_fma_f32 v88, 0x3f3bfb3b, v88, -v102
	s_delay_alu instid0(VALU_DEP_3) | instskip(NEXT) | instid1(VALU_DEP_2)
	v_dual_fmac_f32 v110, 0xbee1c552, v79 :: v_dual_add_f32 v91, v91, v64
	v_add_f32_e32 v64, v88, v64
	s_delay_alu instid0(VALU_DEP_2)
	v_sub_f32_e32 v94, v77, v110
	v_fma_f32 v106, 0x3eae86e6, v113, -v98
	v_add_f32_e32 v83, v83, v108
	v_fma_f32 v98, 0x3f3bfb3b, v100, -v101
	s_waitcnt vmcnt(6)
	v_mul_f32_e32 v88, v171, v118
	v_fmac_f32_e32 v106, 0xbee1c552, v79
	s_delay_alu instid0(VALU_DEP_3) | instskip(NEXT) | instid1(VALU_DEP_2)
	v_add_f32_e32 v102, v98, v108
	v_sub_f32_e32 v98, v91, v106
	v_fma_f32 v81, 0xbf5ff5aa, v81, -v99
	s_delay_alu instid0(VALU_DEP_3) | instskip(NEXT) | instid1(VALU_DEP_2)
	v_add_f32_e32 v103, v66, v102
	v_fmac_f32_e32 v81, 0xbee1c552, v79
	v_add_f32_e32 v99, v54, v83
	s_waitcnt vmcnt(5) lgkmcnt(0)
	v_dual_sub_f32 v101, v102, v66 :: v_dual_mul_f32 v66, v173, v125
	v_dual_sub_f32 v79, v83, v54 :: v_dual_mul_f32 v54, v165, v132
	v_add_f32_e32 v100, v81, v64
	v_sub_f32_e32 v102, v64, v81
	v_dual_mul_f32 v64, v175, v116 :: v_dual_mul_f32 v81, v82, v171
	v_fmac_f32_e32 v66, v71, v172
	v_fmac_f32_e32 v54, v75, v164
	s_delay_alu instid0(VALU_DEP_3) | instskip(NEXT) | instid1(VALU_DEP_4)
	v_dual_mul_f32 v75, v75, v165 :: v_dual_fmac_f32 v64, v78, v174
	v_fma_f32 v113, v170, v118, -v81
	v_dual_mul_f32 v81, v73, v169 :: v_dual_fmac_f32 v88, v82, v170
	v_mul_f32_e32 v71, v71, v173
	v_mul_f32_e32 v108, v167, v134
	v_fma_f32 v75, v164, v132, -v75
	v_mul_f32_e32 v78, v78, v175
	v_fma_f32 v114, v168, v136, -v81
	v_mul_f32_e32 v112, v169, v136
	v_sub_f32_e32 v82, v64, v66
	v_sub_f32_e32 v81, v105, v58
	v_fma_f32 v116, v174, v116, -v78
	v_add_f32_e32 v78, v106, v91
	v_dual_fmac_f32 v112, v73, v168 :: v_dual_add_f32 v73, v75, v113
	v_dual_sub_f32 v91, v54, v88 :: v_dual_fmac_f32 v108, v80, v166
	v_mul_f32_e32 v80, v80, v167
	v_fma_f32 v71, v172, v125, -v71
	v_sub_f32_e32 v75, v75, v113
	s_delay_alu instid0(VALU_DEP_4) | instskip(NEXT) | instid1(VALU_DEP_4)
	v_sub_f32_e32 v58, v91, v82
	v_fma_f32 v115, v166, v134, -v80
	s_delay_alu instid0(VALU_DEP_4) | instskip(SKIP_2) | instid1(VALU_DEP_4)
	v_add_f32_e32 v80, v116, v71
	v_sub_f32_e32 v71, v116, v71
	v_add_f32_e32 v64, v64, v66
	v_add_f32_e32 v117, v115, v114
	s_delay_alu instid0(VALU_DEP_4) | instskip(NEXT) | instid1(VALU_DEP_2)
	v_dual_sub_f32 v125, v73, v80 :: v_dual_sub_f32 v114, v115, v114
	v_add_f32_e32 v83, v73, v117
	v_sub_f32_e32 v105, v80, v117
	s_delay_alu instid0(VALU_DEP_3) | instskip(SKIP_1) | instid1(VALU_DEP_4)
	v_sub_f32_e32 v113, v71, v114
	v_sub_f32_e32 v73, v117, v73
	v_add_f32_e32 v119, v80, v83
	s_delay_alu instid0(VALU_DEP_4) | instskip(SKIP_1) | instid1(VALU_DEP_3)
	v_dual_sub_f32 v118, v108, v112 :: v_dual_mul_f32 v105, 0x3d64c772, v105
	v_add_f32_e32 v66, v108, v112
	v_dual_add_f32 v80, v110, v77 :: v_dual_add_f32 v83, v104, v119
	s_delay_alu instid0(VALU_DEP_3) | instskip(NEXT) | instid1(VALU_DEP_4)
	v_sub_f32_e32 v106, v82, v118
	v_dual_add_f32 v82, v82, v118 :: v_dual_fmamk_f32 v77, v125, 0x3f4a47b2, v105
	v_mul_f32_e32 v113, 0x3f08b237, v113
	s_delay_alu instid0(VALU_DEP_4) | instskip(SKIP_1) | instid1(VALU_DEP_4)
	v_fmamk_f32 v132, v119, 0xbf955555, v83
	v_add_f32_e32 v54, v54, v88
	v_add_f32_e32 v104, v91, v82
	s_delay_alu instid0(VALU_DEP_3) | instskip(SKIP_1) | instid1(VALU_DEP_4)
	v_add_f32_e32 v108, v77, v132
	v_mul_f32_e32 v106, 0x3f08b237, v106
	v_add_f32_e32 v82, v54, v66
	v_dual_sub_f32 v77, v64, v66 :: v_dual_sub_f32 v112, v54, v64
	s_delay_alu instid0(VALU_DEP_3) | instskip(NEXT) | instid1(VALU_DEP_2)
	v_fmamk_f32 v110, v58, 0xbeae86e6, v106
	v_dual_add_f32 v64, v64, v82 :: v_dual_mul_f32 v115, 0x3d64c772, v77
	s_delay_alu instid0(VALU_DEP_1) | instskip(SKIP_3) | instid1(VALU_DEP_2)
	v_add_f32_e32 v82, v76, v64
	v_sub_f32_e32 v76, v118, v91
	v_sub_f32_e32 v91, v75, v71
	v_dual_add_f32 v71, v71, v114 :: v_dual_fmac_f32 v110, 0xbee1c552, v104
	v_fmamk_f32 v133, v91, 0xbeae86e6, v113
	s_delay_alu instid0(VALU_DEP_2)
	v_add_f32_e32 v71, v75, v71
	v_dual_sub_f32 v75, v114, v75 :: v_dual_mul_f32 v88, 0x3f4a47b2, v125
	ds_load_2addr_b32 v[125:126], v144 offset0:10 offset1:59
	v_dual_sub_f32 v54, v66, v54 :: v_dual_fmac_f32 v133, 0xbee1c552, v71
	v_dual_mul_f32 v66, 0xbf5ff5aa, v75 :: v_dual_add_f32 v77, v110, v108
	v_fma_f32 v88, 0xbf3bfb3b, v73, -v88
	v_fma_f32 v73, 0x3f3bfb3b, v73, -v105
	;; [unrolled: 1-line block ×3, first 2 shown]
	s_delay_alu instid0(VALU_DEP_4)
	v_fma_f32 v66, 0x3eae86e6, v91, -v66
	s_waitcnt vmcnt(4)
	v_mul_f32_e32 v138, v45, v135
	v_add_f32_e32 v88, v88, v132
	v_add_f32_e32 v73, v73, v132
	v_fmac_f32_e32 v75, 0xbee1c552, v71
	v_mul_f32_e32 v45, v72, v45
	s_waitcnt lgkmcnt(0)
	v_dual_mul_f32 v139, v47, v126 :: v_dual_mul_f32 v118, 0xbf5ff5aa, v76
	v_fma_f32 v91, 0xbf5ff5aa, v76, -v106
	s_delay_alu instid0(VALU_DEP_2) | instskip(NEXT) | instid1(VALU_DEP_3)
	v_fmac_f32_e32 v139, v69, v46
	v_fma_f32 v58, 0x3eae86e6, v58, -v118
	ds_load_2addr_b32 v[118:119], v142 offset0:174 offset1:223
	v_fmac_f32_e32 v91, 0xbee1c552, v104
	v_dual_mul_f32 v69, v69, v47 :: v_dual_fmac_f32 v58, 0xbee1c552, v104
	v_fmac_f32_e32 v66, 0xbee1c552, v71
	s_delay_alu instid0(VALU_DEP_3) | instskip(SKIP_4) | instid1(VALU_DEP_3)
	v_dual_sub_f32 v113, v73, v91 :: v_dual_fmamk_f32 v116, v112, 0x3f4a47b2, v115
	s_waitcnt vmcnt(3)
	v_dual_mul_f32 v71, v49, v131 :: v_dual_mul_f32 v112, 0x3f4a47b2, v112
	v_mul_f32_e32 v49, v74, v49
	v_dual_add_f32 v105, v58, v88 :: v_dual_fmamk_f32 v64, v64, 0xbf955555, v82
	v_fmac_f32_e32 v71, v74, v48
	s_delay_alu instid0(VALU_DEP_4)
	v_fma_f32 v112, 0xbf3bfb3b, v54, -v112
	v_fma_f32 v69, v46, v126, -v69
	;; [unrolled: 1-line block ×3, first 2 shown]
	s_waitcnt vmcnt(2)
	v_dual_mul_f32 v136, v41, v124 :: v_dual_mul_f32 v41, v70, v41
	v_mul_f32_e32 v46, v63, v51
	s_waitcnt lgkmcnt(0)
	v_dual_mul_f32 v137, v51, v119 :: v_dual_add_f32 v134, v116, v64
	ds_load_2addr_b32 v[116:117], v143 offset0:92 offset1:141
	v_add_f32_e32 v106, v112, v64
	v_fma_f32 v54, 0x3f3bfb3b, v54, -v115
	v_fmac_f32_e32 v137, v63, v50
	v_fma_f32 v63, v40, v124, -v41
	v_sub_f32_e32 v41, v108, v110
	v_dual_fmac_f32 v138, v72, v44 :: v_dual_add_f32 v115, v91, v73
	v_sub_f32_e32 v73, v71, v139
	v_dual_add_f32 v71, v71, v139 :: v_dual_sub_f32 v76, v134, v133
	v_mul_f32_e32 v49, v61, v43
	s_delay_alu instid0(VALU_DEP_4)
	v_sub_f32_e32 v142, v137, v138
	v_sub_f32_e32 v47, v88, v58
	;; [unrolled: 1-line block ×3, first 2 shown]
	v_fma_f32 v51, v44, v135, -v45
	v_fma_f32 v50, v50, v119, -v46
	v_add_f32_e32 v74, v137, v138
	s_waitcnt lgkmcnt(0)
	v_mul_f32_e32 v132, v43, v117
	ds_load_2addr_b32 v[43:44], v141 offset1:49
	v_add_f32_e32 v88, v71, v74
	v_dual_fmac_f32 v132, v61, v42 :: v_dual_add_f32 v61, v48, v69
	v_fmac_f32_e32 v136, v70, v40
	v_add_f32_e32 v54, v54, v64
	v_fma_f32 v42, v42, v117, -v49
	v_sub_f32_e32 v48, v48, v69
	s_delay_alu instid0(VALU_DEP_4) | instskip(NEXT) | instid1(VALU_DEP_4)
	v_sub_f32_e32 v64, v132, v136
	v_add_f32_e32 v112, v75, v54
	s_delay_alu instid0(VALU_DEP_2) | instskip(NEXT) | instid1(VALU_DEP_1)
	v_dual_sub_f32 v114, v54, v75 :: v_dual_add_f32 v45, v64, v142
	v_dual_add_f32 v70, v73, v45 :: v_dual_add_f32 v45, v42, v63
	s_delay_alu instid0(VALU_DEP_1) | instskip(NEXT) | instid1(VALU_DEP_1)
	v_dual_sub_f32 v42, v42, v63 :: v_dual_sub_f32 v75, v61, v45
	v_dual_mul_f32 v91, 0x3f4a47b2, v75 :: v_dual_sub_f32 v54, v64, v142
	v_sub_f32_e32 v58, v73, v64
	v_add_f32_e32 v64, v50, v51
	s_delay_alu instid0(VALU_DEP_1) | instskip(SKIP_1) | instid1(VALU_DEP_2)
	v_dual_sub_f32 v50, v50, v51 :: v_dual_add_f32 v49, v61, v64
	v_sub_f32_e32 v72, v45, v64
	v_add_f32_e32 v49, v45, v49
	s_waitcnt lgkmcnt(0)
	s_delay_alu instid0(VALU_DEP_1) | instskip(SKIP_1) | instid1(VALU_DEP_1)
	v_add_f32_e32 v45, v44, v49
	v_dual_add_f32 v44, v132, v136 :: v_dual_sub_f32 v73, v142, v73
	v_dual_sub_f32 v51, v71, v44 :: v_dual_add_f32 v46, v66, v106
	s_delay_alu instid0(VALU_DEP_3) | instskip(NEXT) | instid1(VALU_DEP_1)
	v_dual_fmamk_f32 v106, v49, 0xbf955555, v45 :: v_dual_sub_f32 v49, v44, v74
	v_dual_add_f32 v88, v44, v88 :: v_dual_mul_f32 v63, 0x3d64c772, v49
	s_delay_alu instid0(VALU_DEP_1) | instskip(SKIP_2) | instid1(VALU_DEP_4)
	v_add_f32_e32 v44, v57, v88
	v_add_f32_e32 v40, v133, v134
	v_sub_f32_e32 v49, v42, v50
	v_fmamk_f32 v57, v51, 0x3f4a47b2, v63
	v_mul_f32_e32 v51, 0x3f4a47b2, v51
	v_mul_f32_e32 v72, 0x3d64c772, v72
	s_delay_alu instid0(VALU_DEP_4) | instskip(NEXT) | instid1(VALU_DEP_2)
	v_mul_f32_e32 v108, 0x3f08b237, v49
	v_fmamk_f32 v75, v75, 0x3f4a47b2, v72
	s_delay_alu instid0(VALU_DEP_1) | instskip(SKIP_4) | instid1(VALU_DEP_4)
	v_add_f32_e32 v69, v75, v106
	v_mul_f32_e32 v54, 0x3f08b237, v54
	v_fmamk_f32 v75, v88, 0xbf955555, v44
	v_sub_f32_e32 v61, v64, v61
	v_sub_f32_e32 v88, v48, v42
	v_fmamk_f32 v66, v58, 0xbeae86e6, v54
	s_delay_alu instid0(VALU_DEP_4) | instskip(NEXT) | instid1(VALU_DEP_3)
	v_dual_add_f32 v110, v57, v75 :: v_dual_mul_f32 v57, 0xbf5ff5aa, v73
	v_dual_fmamk_f32 v117, v88, 0xbeae86e6, v108 :: v_dual_sub_f32 v64, v74, v71
	s_delay_alu instid0(VALU_DEP_3) | instskip(NEXT) | instid1(VALU_DEP_3)
	v_fmac_f32_e32 v66, 0xbee1c552, v70
	v_fma_f32 v71, 0x3eae86e6, v58, -v57
	s_delay_alu instid0(VALU_DEP_3) | instskip(NEXT) | instid1(VALU_DEP_3)
	v_fma_f32 v51, 0xbf3bfb3b, v64, -v51
	v_add_f32_e32 v49, v66, v69
	v_fma_f32 v54, 0xbf5ff5aa, v73, -v54
	s_delay_alu instid0(VALU_DEP_4) | instskip(SKIP_1) | instid1(VALU_DEP_3)
	v_fmac_f32_e32 v71, 0xbee1c552, v70
	v_add_f32_e32 v42, v42, v50
	v_fmac_f32_e32 v54, 0xbee1c552, v70
	v_dual_mul_f32 v70, v27, v125 :: v_dual_mul_f32 v27, v68, v27
	s_delay_alu instid0(VALU_DEP_3) | instskip(NEXT) | instid1(VALU_DEP_2)
	v_add_f32_e32 v42, v48, v42
	v_fmac_f32_e32 v70, v68, v26
	s_delay_alu instid0(VALU_DEP_2) | instskip(SKIP_2) | instid1(VALU_DEP_3)
	v_dual_fmac_f32 v117, 0xbee1c552, v42 :: v_dual_sub_f32 v50, v50, v48
	v_fma_f32 v48, 0xbf3bfb3b, v61, -v91
	v_add_f32_e32 v91, v51, v75
	v_mul_f32_e32 v57, 0xbf5ff5aa, v50
	s_delay_alu instid0(VALU_DEP_3)
	v_add_f32_e32 v74, v48, v106
	v_fma_f32 v48, 0x3f3bfb3b, v61, -v72
	v_fma_f32 v61, 0xbf5ff5aa, v50, -v108
	;; [unrolled: 1-line block ×4, first 2 shown]
	s_waitcnt vmcnt(0)
	v_dual_mul_f32 v72, v128, v107 :: v_dual_add_f32 v51, v71, v74
	v_add_f32_e32 v63, v48, v106
	v_fmac_f32_e32 v61, 0xbee1c552, v42
	v_fmac_f32_e32 v88, 0xbee1c552, v42
	v_add_f32_e32 v42, v50, v75
	v_fmac_f32_e32 v72, v59, v127
	v_fma_f32 v75, v26, v125, -v27
	v_mul_f32_e32 v27, v59, v128
	v_mul_f32_e32 v59, v60, v130
	v_sub_f32_e32 v58, v63, v54
	v_dual_add_f32 v57, v61, v42 :: v_dual_mul_f32 v26, v62, v123
	s_delay_alu instid0(VALU_DEP_4) | instskip(NEXT) | instid1(VALU_DEP_4)
	v_fma_f32 v106, v127, v107, -v27
	v_fma_f32 v59, v129, v116, -v59
	v_add_f32_e32 v64, v54, v63
	v_sub_f32_e32 v63, v42, v61
	v_dual_mul_f32 v42, v130, v116 :: v_dual_sub_f32 v27, v69, v66
	v_sub_f32_e32 v61, v74, v71
	v_dual_mul_f32 v71, v123, v118 :: v_dual_mul_f32 v54, v121, v111
	s_delay_alu instid0(VALU_DEP_1) | instskip(NEXT) | instid1(VALU_DEP_2)
	v_dual_fmac_f32 v42, v60, v129 :: v_dual_fmac_f32 v71, v62, v122
	v_fmac_f32_e32 v54, v67, v120
	s_delay_alu instid0(VALU_DEP_2) | instskip(SKIP_3) | instid1(VALU_DEP_4)
	v_dual_sub_f32 v68, v42, v72 :: v_dual_mul_f32 v67, v67, v121
	v_add_f32_e32 v42, v42, v72
	v_mul_f32_e32 v74, v25, v109
	v_mul_f32_e32 v25, v65, v25
	v_fma_f32 v62, v120, v111, -v67
	s_delay_alu instid0(VALU_DEP_3) | instskip(NEXT) | instid1(VALU_DEP_3)
	v_fmac_f32_e32 v74, v65, v24
	v_fma_f32 v24, v24, v109, -v25
	v_fma_f32 v25, v122, v118, -v26
	s_delay_alu instid0(VALU_DEP_4) | instskip(NEXT) | instid1(VALU_DEP_4)
	v_add_f32_e32 v67, v62, v75
	v_dual_sub_f32 v48, v110, v117 :: v_dual_sub_f32 v65, v71, v74
	s_delay_alu instid0(VALU_DEP_3) | instskip(SKIP_3) | instid1(VALU_DEP_4)
	v_add_f32_e32 v107, v25, v24
	v_sub_f32_e32 v50, v91, v88
	v_sub_f32_e32 v24, v25, v24
	v_dual_add_f32 v60, v88, v91 :: v_dual_add_f32 v91, v59, v106
	v_add_f32_e32 v108, v67, v107
	v_dual_sub_f32 v59, v59, v106 :: v_dual_sub_f32 v26, v68, v65
	s_delay_alu instid0(VALU_DEP_3) | instskip(NEXT) | instid1(VALU_DEP_3)
	v_sub_f32_e32 v66, v91, v107
	v_add_f32_e32 v69, v91, v108
	v_sub_f32_e32 v91, v67, v91
	s_delay_alu instid0(VALU_DEP_4) | instskip(SKIP_1) | instid1(VALU_DEP_4)
	v_mul_f32_e32 v109, 0x3f08b237, v26
	v_add_f32_e32 v26, v117, v110
	v_dual_mul_f32 v110, 0x3d64c772, v66 :: v_dual_add_f32 v43, v43, v69
	s_delay_alu instid0(VALU_DEP_4) | instskip(SKIP_1) | instid1(VALU_DEP_3)
	v_mul_f32_e32 v72, 0x3f4a47b2, v91
	v_sub_f32_e32 v67, v107, v67
	v_fmamk_f32 v69, v69, 0xbf955555, v43
	s_delay_alu instid0(VALU_DEP_4) | instskip(NEXT) | instid1(VALU_DEP_1)
	v_fmamk_f32 v66, v91, 0x3f4a47b2, v110
	v_add_f32_e32 v91, v66, v69
	v_sub_f32_e32 v73, v54, v70
	v_add_f32_e32 v54, v54, v70
	v_add_f32_e32 v70, v71, v74
	s_delay_alu instid0(VALU_DEP_2) | instskip(NEXT) | instid1(VALU_DEP_2)
	v_sub_f32_e32 v25, v54, v42
	v_add_f32_e32 v71, v54, v70
	v_sub_f32_e32 v66, v42, v70
	s_delay_alu instid0(VALU_DEP_1) | instskip(NEXT) | instid1(VALU_DEP_1)
	v_dual_add_f32 v71, v42, v71 :: v_dual_mul_f32 v74, 0x3d64c772, v66
	v_add_f32_e32 v42, v56, v71
	v_sub_f32_e32 v56, v62, v75
	s_delay_alu instid0(VALU_DEP_3) | instskip(SKIP_1) | instid1(VALU_DEP_3)
	v_dual_sub_f32 v62, v59, v24 :: v_dual_fmamk_f32 v75, v25, 0x3f4a47b2, v74
	v_mul_f32_e32 v25, 0x3f4a47b2, v25
	v_dual_fmamk_f32 v71, v71, 0xbf955555, v42 :: v_dual_sub_f32 v106, v56, v59
	s_delay_alu instid0(VALU_DEP_3) | instskip(NEXT) | instid1(VALU_DEP_2)
	v_dual_mul_f32 v62, 0x3f08b237, v62 :: v_dual_add_f32 v59, v59, v24
	v_dual_sub_f32 v88, v73, v68 :: v_dual_add_f32 v75, v75, v71
	s_delay_alu instid0(VALU_DEP_2) | instskip(NEXT) | instid1(VALU_DEP_3)
	v_dual_sub_f32 v24, v24, v56 :: v_dual_fmamk_f32 v111, v106, 0xbeae86e6, v62
	v_add_f32_e32 v59, v56, v59
	v_add_f32_e32 v68, v68, v65
	s_delay_alu instid0(VALU_DEP_4) | instskip(NEXT) | instid1(VALU_DEP_2)
	v_fmamk_f32 v108, v88, 0xbeae86e6, v109
	v_dual_fmac_f32 v111, 0xbee1c552, v59 :: v_dual_add_f32 v68, v73, v68
	v_sub_f32_e32 v73, v65, v73
	s_delay_alu instid0(VALU_DEP_1) | instskip(NEXT) | instid1(VALU_DEP_1)
	v_mul_f32_e32 v65, 0xbf5ff5aa, v73
	v_fma_f32 v56, 0x3eae86e6, v88, -v65
	s_delay_alu instid0(VALU_DEP_4)
	v_dual_sub_f32 v65, v75, v111 :: v_dual_sub_f32 v54, v70, v54
	v_fma_f32 v70, 0xbf3bfb3b, v67, -v72
	v_mul_f32_e32 v72, 0xbf5ff5aa, v24
	v_fma_f32 v24, 0xbf5ff5aa, v24, -v62
	v_mul_hi_u32 v62, 0xbf112a8b, v140
	v_fma_f32 v25, 0xbf3bfb3b, v54, -v25
	v_fma_f32 v54, 0x3f3bfb3b, v54, -v74
	;; [unrolled: 1-line block ×4, first 2 shown]
	v_fmac_f32_e32 v24, 0xbee1c552, v59
	v_add_f32_e32 v107, v25, v71
	v_fma_f32 v25, 0x3f3bfb3b, v67, -v110
	v_fmac_f32_e32 v106, 0xbee1c552, v59
	v_add_f32_e32 v54, v54, v71
	v_lshrrev_b32_e32 v59, 8, v62
	v_add_f32_e32 v88, v70, v69
	v_add_f32_e32 v25, v25, v69
	v_dual_sub_f32 v67, v107, v106 :: v_dual_fmac_f32 v72, 0xbee1c552, v68
	v_add_f32_e32 v69, v24, v54
	v_sub_f32_e32 v71, v54, v24
	v_fmac_f32_e32 v56, 0xbee1c552, v68
	v_mul_u32_u24_e32 v59, 0x157, v59
	v_sub_f32_e32 v70, v25, v72
	v_add_f32_e32 v72, v72, v25
	v_lshlrev_b64 v[24:25], 3, v[92:93]
	v_dual_fmac_f32 v108, 0xbee1c552, v68 :: v_dual_add_f32 v73, v106, v107
	v_add_f32_e32 v68, v56, v88
	v_sub_f32_e32 v74, v88, v56
	v_sub_nc_u32_e32 v56, v140, v59
	v_add_co_u32 v24, vcc_lo, s6, v24
	v_add_nc_u32_e32 v59, 49, v140
	v_add_co_ci_u32_e32 v25, vcc_lo, s7, v25, vcc_lo
	s_delay_alu instid0(VALU_DEP_3) | instskip(NEXT) | instid1(VALU_DEP_3)
	v_add_co_u32 v24, vcc_lo, v24, v52
	v_mul_hi_u32 v52, 0xbf112a8b, v59
	v_lshlrev_b32_e32 v56, 3, v56
	s_delay_alu instid0(VALU_DEP_4) | instskip(SKIP_2) | instid1(VALU_DEP_4)
	v_add_co_ci_u32_e32 v25, vcc_lo, v25, v53, vcc_lo
	v_add_f32_e32 v66, v108, v91
	v_sub_f32_e32 v54, v91, v108
	v_add_co_u32 v91, vcc_lo, v24, v56
	s_delay_alu instid0(VALU_DEP_4) | instskip(SKIP_1) | instid1(VALU_DEP_3)
	v_add_co_ci_u32_e32 v92, vcc_lo, 0, v25, vcc_lo
	v_lshrrev_b32_e32 v52, 8, v52
	v_add_co_u32 v106, vcc_lo, 0x1000, v91
	s_delay_alu instid0(VALU_DEP_3) | instskip(NEXT) | instid1(VALU_DEP_3)
	v_add_co_ci_u32_e32 v107, vcc_lo, 0, v92, vcc_lo
	v_mul_u32_u24_e32 v56, 0x157, v52
	v_add_f32_e32 v53, v111, v75
	v_add_co_u32 v108, vcc_lo, 0x2000, v91
	v_add_co_ci_u32_e32 v109, vcc_lo, 0, v92, vcc_lo
	s_clause 0x3
	global_store_b64 v[91:92], v[42:43], off
	global_store_b64 v[91:92], v[53:54], off offset:2744
	global_store_b64 v[106:107], v[73:74], off offset:1392
	;; [unrolled: 1-line block ×3, first 2 shown]
	v_sub_nc_u32_e32 v53, v59, v56
	v_add_co_u32 v42, vcc_lo, 0x3000, v91
	v_add_co_ci_u32_e32 v43, vcc_lo, 0, v92, vcc_lo
	s_delay_alu instid0(VALU_DEP_3) | instskip(SKIP_2) | instid1(VALU_DEP_3)
	v_mad_u32_u24 v54, 0x961, v52, v53
	v_add_co_u32 v52, vcc_lo, 0x4000, v91
	v_add_co_ci_u32_e32 v53, vcc_lo, 0, v92, vcc_lo
	v_dual_mov_b32 v72, v55 :: v_dual_add_nc_u32 v71, 0x157, v54
	v_lshlrev_b64 v[73:74], 3, v[54:55]
	s_clause 0x2
	global_store_b64 v[108:109], v[69:70], off offset:2784
	global_store_b64 v[42:43], v[67:68], off offset:1432
	;; [unrolled: 1-line block ×3, first 2 shown]
	v_dual_mov_b32 v53, v55 :: v_dual_add_nc_u32 v52, 0x2ae, v54
	v_add_nc_u32_e32 v56, 0x62, v140
	v_lshlrev_b64 v[42:43], 3, v[71:72]
	v_dual_mov_b32 v68, v55 :: v_dual_add_nc_u32 v67, 0x405, v54
	v_add_co_u32 v65, vcc_lo, v24, v73
	v_lshlrev_b64 v[52:53], 3, v[52:53]
	v_mul_hi_u32 v59, 0xbf112a8b, v56
	v_add_co_ci_u32_e32 v66, vcc_lo, v25, v74, vcc_lo
	v_add_co_u32 v42, vcc_lo, v24, v42
	v_lshlrev_b64 v[67:68], 3, v[67:68]
	v_add_co_ci_u32_e32 v43, vcc_lo, v25, v43, vcc_lo
	v_add_co_u32 v52, vcc_lo, v24, v52
	v_add_co_ci_u32_e32 v53, vcc_lo, v25, v53, vcc_lo
	v_lshrrev_b32_e32 v59, 8, v59
	v_dual_mov_b32 v70, v55 :: v_dual_add_nc_u32 v69, 0x55c, v54
	v_add_co_u32 v67, vcc_lo, v24, v67
	v_add_co_ci_u32_e32 v68, vcc_lo, v25, v68, vcc_lo
	v_add_nc_u32_e32 v71, 0x6b3, v54
	s_clause 0x3
	global_store_b64 v[65:66], v[44:45], off
	global_store_b64 v[42:43], v[26:27], off
	global_store_b64 v[52:53], v[60:61], off
	global_store_b64 v[67:68], v[63:64], off
	v_mul_u32_u24_e32 v52, 0x157, v59
	v_lshlrev_b64 v[69:70], 3, v[69:70]
	v_add_nc_u32_e32 v54, 0x80a, v54
	v_lshlrev_b64 v[26:27], 3, v[71:72]
	v_mov_b32_e32 v53, v55
	v_sub_nc_u32_e32 v52, v56, v52
	v_add_nc_u32_e32 v56, 0x93, v140
	v_add_co_u32 v42, vcc_lo, v24, v69
	v_lshlrev_b64 v[44:45], 3, v[54:55]
	v_add_co_ci_u32_e32 v43, vcc_lo, v25, v70, vcc_lo
	v_add_co_u32 v26, vcc_lo, v24, v26
	v_mad_u32_u24 v54, 0x961, v59, v52
	v_add_co_ci_u32_e32 v27, vcc_lo, v25, v27, vcc_lo
	v_add_co_u32 v44, vcc_lo, v24, v44
	v_add_co_ci_u32_e32 v45, vcc_lo, v25, v45, vcc_lo
	s_delay_alu instid0(VALU_DEP_4)
	v_add_nc_u32_e32 v52, 0x157, v54
	v_lshlrev_b64 v[59:60], 3, v[54:55]
	s_clause 0x2
	global_store_b64 v[42:43], v[57:58], off
	global_store_b64 v[26:27], v[50:51], off
	;; [unrolled: 1-line block ×3, first 2 shown]
	v_dual_mov_b32 v43, v55 :: v_dual_add_nc_u32 v42, 0x2ae, v54
	v_lshlrev_b64 v[26:27], 3, v[52:53]
	v_dual_mov_b32 v49, v55 :: v_dual_add_nc_u32 v48, 0x405, v54
	v_add_co_u32 v44, vcc_lo, v24, v59
	s_delay_alu instid0(VALU_DEP_4)
	v_lshlrev_b64 v[42:43], 3, v[42:43]
	v_mul_hi_u32 v57, 0xbf112a8b, v56
	v_add_co_ci_u32_e32 v45, vcc_lo, v25, v60, vcc_lo
	v_add_co_u32 v26, vcc_lo, v24, v26
	v_lshlrev_b64 v[48:49], 3, v[48:49]
	v_add_co_ci_u32_e32 v27, vcc_lo, v25, v27, vcc_lo
	v_add_co_u32 v42, vcc_lo, v24, v42
	v_add_co_ci_u32_e32 v43, vcc_lo, v25, v43, vcc_lo
	v_lshrrev_b32_e32 v57, 8, v57
	v_dual_mov_b32 v51, v55 :: v_dual_add_nc_u32 v50, 0x55c, v54
	v_add_co_u32 v48, vcc_lo, v24, v48
	v_add_co_ci_u32_e32 v49, vcc_lo, v25, v49, vcc_lo
	v_add_nc_u32_e32 v52, 0x6b3, v54
	s_clause 0x3
	global_store_b64 v[44:45], v[82:83], off
	global_store_b64 v[26:27], v[40:41], off
	;; [unrolled: 1-line block ×4, first 2 shown]
	v_mul_u32_u24_e32 v44, 0x157, v57
	v_lshlrev_b64 v[50:51], 3, v[50:51]
	v_add_nc_u32_e32 v54, 0x80a, v54
	v_lshlrev_b64 v[26:27], 3, v[52:53]
	v_mov_b32_e32 v45, v55
	v_sub_nc_u32_e32 v44, v56, v44
	v_mov_b32_e32 v49, v55
	v_add_co_u32 v40, vcc_lo, v24, v50
	v_lshlrev_b64 v[42:43], 3, v[54:55]
	v_add_co_ci_u32_e32 v41, vcc_lo, v25, v51, vcc_lo
	v_add_co_u32 v26, vcc_lo, v24, v26
	v_mad_u32_u24 v54, 0x961, v57, v44
	v_add_co_ci_u32_e32 v27, vcc_lo, v25, v27, vcc_lo
	v_add_co_u32 v42, vcc_lo, v24, v42
	v_add_co_ci_u32_e32 v43, vcc_lo, v25, v43, vcc_lo
	s_delay_alu instid0(VALU_DEP_4)
	v_add_nc_u32_e32 v44, 0x157, v54
	v_lshlrev_b64 v[46:47], 3, v[54:55]
	s_clause 0x2
	global_store_b64 v[40:41], v[112:113], off
	global_store_b64 v[26:27], v[104:105], off
	;; [unrolled: 1-line block ×3, first 2 shown]
	v_dual_mov_b32 v41, v55 :: v_dual_add_nc_u32 v40, 0x2ae, v54
	v_add_nc_u32_e32 v50, 0xc4, v140
	v_lshlrev_b64 v[26:27], 3, v[44:45]
	v_add_nc_u32_e32 v44, 0x405, v54
	v_add_co_u32 v42, vcc_lo, v24, v46
	v_lshlrev_b64 v[40:41], 3, v[40:41]
	v_mul_hi_u32 v51, 0xbf112a8b, v50
	v_add_co_ci_u32_e32 v43, vcc_lo, v25, v47, vcc_lo
	v_add_co_u32 v26, vcc_lo, v24, v26
	v_lshlrev_b64 v[44:45], 3, v[44:45]
	v_add_co_ci_u32_e32 v27, vcc_lo, v25, v27, vcc_lo
	v_add_co_u32 v40, vcc_lo, v24, v40
	v_add_co_ci_u32_e32 v41, vcc_lo, v25, v41, vcc_lo
	v_lshrrev_b32_e32 v51, 8, v51
	v_dual_mov_b32 v47, v55 :: v_dual_add_nc_u32 v46, 0x55c, v54
	v_add_co_u32 v44, vcc_lo, v24, v44
	v_add_co_ci_u32_e32 v45, vcc_lo, v25, v45, vcc_lo
	v_add_nc_u32_e32 v48, 0x6b3, v54
	s_clause 0x3
	global_store_b64 v[42:43], v[96:97], off
	global_store_b64 v[26:27], v[80:81], off
	;; [unrolled: 1-line block ×4, first 2 shown]
	v_mul_u32_u24_e32 v44, 0x157, v51
	v_lshlrev_b64 v[46:47], 3, v[46:47]
	v_add_nc_u32_e32 v54, 0x80a, v54
	v_lshlrev_b64 v[26:27], 3, v[48:49]
	v_mov_b32_e32 v45, v55
	v_sub_nc_u32_e32 v44, v50, v44
	v_add_nc_u32_e32 v50, 0xf5, v140
	v_add_co_u32 v40, vcc_lo, v24, v46
	v_lshlrev_b64 v[42:43], 3, v[54:55]
	v_add_co_ci_u32_e32 v41, vcc_lo, v25, v47, vcc_lo
	v_add_co_u32 v26, vcc_lo, v24, v26
	v_mad_u32_u24 v54, 0x961, v51, v44
	v_add_co_ci_u32_e32 v27, vcc_lo, v25, v27, vcc_lo
	v_add_co_u32 v42, vcc_lo, v24, v42
	v_add_co_ci_u32_e32 v43, vcc_lo, v25, v43, vcc_lo
	s_delay_alu instid0(VALU_DEP_4)
	v_add_nc_u32_e32 v44, 0x157, v54
	v_lshlrev_b64 v[46:47], 3, v[54:55]
	s_clause 0x2
	global_store_b64 v[40:41], v[100:101], off
	global_store_b64 v[26:27], v[98:99], off
	;; [unrolled: 1-line block ×3, first 2 shown]
	v_dual_mov_b32 v41, v55 :: v_dual_add_nc_u32 v40, 0x2ae, v54
	v_lshlrev_b64 v[26:27], 3, v[44:45]
	v_add_nc_u32_e32 v44, 0x405, v54
	v_add_co_u32 v42, vcc_lo, v24, v46
	s_delay_alu instid0(VALU_DEP_4)
	v_lshlrev_b64 v[40:41], 3, v[40:41]
	v_mul_hi_u32 v51, 0xbf112a8b, v50
	v_add_co_ci_u32_e32 v43, vcc_lo, v25, v47, vcc_lo
	v_add_co_u32 v26, vcc_lo, v24, v26
	v_lshlrev_b64 v[44:45], 3, v[44:45]
	v_add_co_ci_u32_e32 v27, vcc_lo, v25, v27, vcc_lo
	v_add_co_u32 v40, vcc_lo, v24, v40
	v_add_co_ci_u32_e32 v41, vcc_lo, v25, v41, vcc_lo
	v_lshrrev_b32_e32 v51, 8, v51
	v_add_co_u32 v44, vcc_lo, v24, v44
	v_dual_mov_b32 v47, v55 :: v_dual_add_nc_u32 v46, 0x55c, v54
	v_add_co_ci_u32_e32 v45, vcc_lo, v25, v45, vcc_lo
	s_clause 0x3
	global_store_b64 v[42:43], v[32:33], off
	global_store_b64 v[26:27], v[86:87], off
	;; [unrolled: 1-line block ×4, first 2 shown]
	v_mul_u32_u24_e32 v42, 0x157, v51
	v_add_nc_u32_e32 v48, 0x6b3, v54
	v_lshlrev_b64 v[46:47], 3, v[46:47]
	v_dual_mov_b32 v43, v55 :: v_dual_add_nc_u32 v54, 0x80a, v54
	s_delay_alu instid0(VALU_DEP_4) | instskip(NEXT) | instid1(VALU_DEP_4)
	v_sub_nc_u32_e32 v42, v50, v42
	v_lshlrev_b64 v[26:27], 3, v[48:49]
	s_delay_alu instid0(VALU_DEP_4) | instskip(NEXT) | instid1(VALU_DEP_4)
	v_add_co_u32 v32, vcc_lo, v24, v46
	v_lshlrev_b64 v[40:41], 3, v[54:55]
	s_delay_alu instid0(VALU_DEP_4)
	v_mad_u32_u24 v54, 0x961, v51, v42
	v_add_co_ci_u32_e32 v33, vcc_lo, v25, v47, vcc_lo
	v_add_co_u32 v26, vcc_lo, v24, v26
	v_add_co_ci_u32_e32 v27, vcc_lo, v25, v27, vcc_lo
	v_add_co_u32 v40, vcc_lo, v24, v40
	v_add_nc_u32_e32 v42, 0x157, v54
	v_add_co_ci_u32_e32 v41, vcc_lo, v25, v41, vcc_lo
	v_lshlrev_b64 v[44:45], 3, v[54:55]
	s_clause 0x2
	global_store_b64 v[32:33], v[38:39], off
	global_store_b64 v[26:27], v[36:37], off
	;; [unrolled: 1-line block ×3, first 2 shown]
	v_lshlrev_b64 v[26:27], 3, v[42:43]
	v_dual_mov_b32 v33, v55 :: v_dual_add_nc_u32 v32, 0x2ae, v54
	v_add_nc_u32_e32 v42, 0x126, v140
	v_dual_mov_b32 v37, v55 :: v_dual_add_nc_u32 v36, 0x405, v54
	v_add_co_u32 v34, vcc_lo, v24, v44
	s_delay_alu instid0(VALU_DEP_4) | instskip(NEXT) | instid1(VALU_DEP_4)
	v_lshlrev_b64 v[32:33], 3, v[32:33]
	v_mul_hi_u32 v43, 0xbf112a8b, v42
	v_add_co_ci_u32_e32 v35, vcc_lo, v25, v45, vcc_lo
	v_add_co_u32 v26, vcc_lo, v24, v26
	v_lshlrev_b64 v[36:37], 3, v[36:37]
	v_add_co_ci_u32_e32 v27, vcc_lo, v25, v27, vcc_lo
	v_add_co_u32 v32, vcc_lo, v24, v32
	v_add_co_ci_u32_e32 v33, vcc_lo, v25, v33, vcc_lo
	v_lshrrev_b32_e32 v43, 8, v43
	v_dual_mov_b32 v39, v55 :: v_dual_add_nc_u32 v38, 0x55c, v54
	v_add_co_u32 v36, vcc_lo, v24, v36
	v_add_co_ci_u32_e32 v37, vcc_lo, v25, v37, vcc_lo
	v_dual_mov_b32 v41, v55 :: v_dual_add_nc_u32 v40, 0x6b3, v54
	s_clause 0x3
	global_store_b64 v[34:35], v[14:15], off
	global_store_b64 v[26:27], v[30:31], off
	;; [unrolled: 1-line block ×4, first 2 shown]
	v_mul_u32_u24_e32 v28, 0x157, v43
	v_lshlrev_b64 v[38:39], 3, v[38:39]
	v_add_nc_u32_e32 v54, 0x80a, v54
	v_lshlrev_b64 v[14:15], 3, v[40:41]
	v_mov_b32_e32 v29, v55
	v_sub_nc_u32_e32 v28, v42, v28
	v_add_co_u32 v22, vcc_lo, v24, v38
	v_lshlrev_b64 v[26:27], 3, v[54:55]
	v_add_co_ci_u32_e32 v23, vcc_lo, v25, v39, vcc_lo
	v_add_co_u32 v14, vcc_lo, v24, v14
	v_mad_u32_u24 v54, 0x961, v43, v28
	v_add_co_ci_u32_e32 v15, vcc_lo, v25, v15, vcc_lo
	v_add_co_u32 v26, vcc_lo, v24, v26
	v_add_co_ci_u32_e32 v27, vcc_lo, v25, v27, vcc_lo
	s_delay_alu instid0(VALU_DEP_4)
	v_add_nc_u32_e32 v28, 0x157, v54
	v_lshlrev_b64 v[30:31], 3, v[54:55]
	s_clause 0x2
	global_store_b64 v[22:23], v[20:21], off
	global_store_b64 v[14:15], v[18:19], off
	;; [unrolled: 1-line block ×3, first 2 shown]
	v_dual_mov_b32 v27, v55 :: v_dual_add_nc_u32 v16, 0x2ae, v54
	v_mov_b32_e32 v17, v55
	v_lshlrev_b64 v[14:15], 3, v[28:29]
	v_dual_mov_b32 v21, v55 :: v_dual_add_nc_u32 v20, 0x405, v54
	v_add_co_u32 v18, vcc_lo, v24, v30
	s_delay_alu instid0(VALU_DEP_4)
	v_lshlrev_b64 v[16:17], 3, v[16:17]
	v_dual_mov_b32 v23, v55 :: v_dual_add_nc_u32 v22, 0x55c, v54
	v_add_co_ci_u32_e32 v19, vcc_lo, v25, v31, vcc_lo
	v_add_co_u32 v14, vcc_lo, v24, v14
	v_lshlrev_b64 v[20:21], 3, v[20:21]
	v_add_nc_u32_e32 v26, 0x6b3, v54
	v_add_co_ci_u32_e32 v15, vcc_lo, v25, v15, vcc_lo
	v_add_co_u32 v16, vcc_lo, v24, v16
	v_lshlrev_b64 v[22:23], 3, v[22:23]
	v_add_nc_u32_e32 v54, 0x80a, v54
	v_add_co_ci_u32_e32 v17, vcc_lo, v25, v17, vcc_lo
	v_add_co_u32 v20, vcc_lo, v24, v20
	v_lshlrev_b64 v[26:27], 3, v[26:27]
	v_add_co_ci_u32_e32 v21, vcc_lo, v25, v21, vcc_lo
	v_add_co_u32 v22, vcc_lo, v24, v22
	v_lshlrev_b64 v[28:29], 3, v[54:55]
	v_add_co_ci_u32_e32 v23, vcc_lo, v25, v23, vcc_lo
	v_add_co_u32 v26, vcc_lo, v24, v26
	v_add_co_ci_u32_e32 v27, vcc_lo, v25, v27, vcc_lo
	s_delay_alu instid0(VALU_DEP_4)
	v_add_co_u32 v24, vcc_lo, v24, v28
	v_add_co_ci_u32_e32 v25, vcc_lo, v25, v29, vcc_lo
	s_clause 0x6
	global_store_b64 v[18:19], v[0:1], off
	global_store_b64 v[14:15], v[12:13], off
	;; [unrolled: 1-line block ×7, first 2 shown]
.LBB0_15:
	s_nop 0
	s_sendmsg sendmsg(MSG_DEALLOC_VGPRS)
	s_endpgm
	.section	.rodata,"a",@progbits
	.p2align	6, 0x0
	.amdhsa_kernel fft_rtc_back_len2401_factors_7_7_7_7_wgs_49_tpt_49_halfLds_sp_op_CI_CI_unitstride_sbrr_dirReg
		.amdhsa_group_segment_fixed_size 0
		.amdhsa_private_segment_fixed_size 0
		.amdhsa_kernarg_size 104
		.amdhsa_user_sgpr_count 15
		.amdhsa_user_sgpr_dispatch_ptr 0
		.amdhsa_user_sgpr_queue_ptr 0
		.amdhsa_user_sgpr_kernarg_segment_ptr 1
		.amdhsa_user_sgpr_dispatch_id 0
		.amdhsa_user_sgpr_private_segment_size 0
		.amdhsa_wavefront_size32 1
		.amdhsa_uses_dynamic_stack 0
		.amdhsa_enable_private_segment 0
		.amdhsa_system_sgpr_workgroup_id_x 1
		.amdhsa_system_sgpr_workgroup_id_y 0
		.amdhsa_system_sgpr_workgroup_id_z 0
		.amdhsa_system_sgpr_workgroup_info 0
		.amdhsa_system_vgpr_workitem_id 0
		.amdhsa_next_free_vgpr 205
		.amdhsa_next_free_sgpr 27
		.amdhsa_reserve_vcc 1
		.amdhsa_float_round_mode_32 0
		.amdhsa_float_round_mode_16_64 0
		.amdhsa_float_denorm_mode_32 3
		.amdhsa_float_denorm_mode_16_64 3
		.amdhsa_dx10_clamp 1
		.amdhsa_ieee_mode 1
		.amdhsa_fp16_overflow 0
		.amdhsa_workgroup_processor_mode 1
		.amdhsa_memory_ordered 1
		.amdhsa_forward_progress 0
		.amdhsa_shared_vgpr_count 0
		.amdhsa_exception_fp_ieee_invalid_op 0
		.amdhsa_exception_fp_denorm_src 0
		.amdhsa_exception_fp_ieee_div_zero 0
		.amdhsa_exception_fp_ieee_overflow 0
		.amdhsa_exception_fp_ieee_underflow 0
		.amdhsa_exception_fp_ieee_inexact 0
		.amdhsa_exception_int_div_zero 0
	.end_amdhsa_kernel
	.text
.Lfunc_end0:
	.size	fft_rtc_back_len2401_factors_7_7_7_7_wgs_49_tpt_49_halfLds_sp_op_CI_CI_unitstride_sbrr_dirReg, .Lfunc_end0-fft_rtc_back_len2401_factors_7_7_7_7_wgs_49_tpt_49_halfLds_sp_op_CI_CI_unitstride_sbrr_dirReg
                                        ; -- End function
	.section	.AMDGPU.csdata,"",@progbits
; Kernel info:
; codeLenInByte = 26704
; NumSgprs: 29
; NumVgprs: 205
; ScratchSize: 0
; MemoryBound: 0
; FloatMode: 240
; IeeeMode: 1
; LDSByteSize: 0 bytes/workgroup (compile time only)
; SGPRBlocks: 3
; VGPRBlocks: 25
; NumSGPRsForWavesPerEU: 29
; NumVGPRsForWavesPerEU: 205
; Occupancy: 7
; WaveLimiterHint : 1
; COMPUTE_PGM_RSRC2:SCRATCH_EN: 0
; COMPUTE_PGM_RSRC2:USER_SGPR: 15
; COMPUTE_PGM_RSRC2:TRAP_HANDLER: 0
; COMPUTE_PGM_RSRC2:TGID_X_EN: 1
; COMPUTE_PGM_RSRC2:TGID_Y_EN: 0
; COMPUTE_PGM_RSRC2:TGID_Z_EN: 0
; COMPUTE_PGM_RSRC2:TIDIG_COMP_CNT: 0
	.text
	.p2alignl 7, 3214868480
	.fill 96, 4, 3214868480
	.type	__hip_cuid_c858f727db05ed84,@object ; @__hip_cuid_c858f727db05ed84
	.section	.bss,"aw",@nobits
	.globl	__hip_cuid_c858f727db05ed84
__hip_cuid_c858f727db05ed84:
	.byte	0                               ; 0x0
	.size	__hip_cuid_c858f727db05ed84, 1

	.ident	"AMD clang version 19.0.0git (https://github.com/RadeonOpenCompute/llvm-project roc-6.4.0 25133 c7fe45cf4b819c5991fe208aaa96edf142730f1d)"
	.section	".note.GNU-stack","",@progbits
	.addrsig
	.addrsig_sym __hip_cuid_c858f727db05ed84
	.amdgpu_metadata
---
amdhsa.kernels:
  - .args:
      - .actual_access:  read_only
        .address_space:  global
        .offset:         0
        .size:           8
        .value_kind:     global_buffer
      - .offset:         8
        .size:           8
        .value_kind:     by_value
      - .actual_access:  read_only
        .address_space:  global
        .offset:         16
        .size:           8
        .value_kind:     global_buffer
      - .actual_access:  read_only
        .address_space:  global
        .offset:         24
        .size:           8
        .value_kind:     global_buffer
      - .actual_access:  read_only
        .address_space:  global
        .offset:         32
        .size:           8
        .value_kind:     global_buffer
      - .offset:         40
        .size:           8
        .value_kind:     by_value
      - .actual_access:  read_only
        .address_space:  global
        .offset:         48
        .size:           8
        .value_kind:     global_buffer
      - .actual_access:  read_only
        .address_space:  global
        .offset:         56
        .size:           8
        .value_kind:     global_buffer
      - .offset:         64
        .size:           4
        .value_kind:     by_value
      - .actual_access:  read_only
        .address_space:  global
        .offset:         72
        .size:           8
        .value_kind:     global_buffer
      - .actual_access:  read_only
        .address_space:  global
        .offset:         80
        .size:           8
        .value_kind:     global_buffer
      - .actual_access:  read_only
        .address_space:  global
        .offset:         88
        .size:           8
        .value_kind:     global_buffer
      - .actual_access:  write_only
        .address_space:  global
        .offset:         96
        .size:           8
        .value_kind:     global_buffer
    .group_segment_fixed_size: 0
    .kernarg_segment_align: 8
    .kernarg_segment_size: 104
    .language:       OpenCL C
    .language_version:
      - 2
      - 0
    .max_flat_workgroup_size: 49
    .name:           fft_rtc_back_len2401_factors_7_7_7_7_wgs_49_tpt_49_halfLds_sp_op_CI_CI_unitstride_sbrr_dirReg
    .private_segment_fixed_size: 0
    .sgpr_count:     29
    .sgpr_spill_count: 0
    .symbol:         fft_rtc_back_len2401_factors_7_7_7_7_wgs_49_tpt_49_halfLds_sp_op_CI_CI_unitstride_sbrr_dirReg.kd
    .uniform_work_group_size: 1
    .uses_dynamic_stack: false
    .vgpr_count:     205
    .vgpr_spill_count: 0
    .wavefront_size: 32
    .workgroup_processor_mode: 1
amdhsa.target:   amdgcn-amd-amdhsa--gfx1100
amdhsa.version:
  - 1
  - 2
...

	.end_amdgpu_metadata
